;; amdgpu-corpus repo=ROCm/aiter kind=harvested arch=n/a opt=n/a

/root/src/amdgpu-assembly/repos/ROCm__aiter/hsa/gfx942/fmoe/silu/fmoe_fp16_pertokenInt8_g1u0_vs_silu_1tg_ps_32x512.co:	file format elf64-amdgpu

Disassembly of section .text:

0000000000002e00 <_ZN5aiter49fmoe_fp16_pertokenInt8_g1u0_vs_silu_1tg_ps_32x512E>:
	v_lshrrev_b32_e32 v1, 10, v0                               // 000000002E00: 2002008A
	v_lshrrev_b32_e32 v2, 10, v1                               // 000000002E04: 2004028A
	v_and_b32_e32 v2, 0x3ff, v2                                // 000000002E08: 260404FF 000003FF
	v_and_b32_e32 v1, 0x3ff, v1                                // 000000002E10: 260202FF 000003FF
	v_and_b32_e32 v0, 0x3ff, v0                                // 000000002E18: 260000FF 000003FF
	v_lshrrev_b32_e32 v3, 6, v0                                // 000000002E20: 20060086
	v_and_b32_e32 v0, 63, v0                                   // 000000002E24: 260000BF
	s_mov_b32 s2, s2                                           // 000000002E28: BE820002
	s_mov_b32 s3, s3                                           // 000000002E2C: BE830003
	s_mov_b32 s4, s4                                           // 000000002E30: BE840004
	s_mov_b32 s99, s2                                          // 000000002E34: BEE30002
	v_readfirstlane_b32 s7, v3                                 // 000000002E38: 7E0E0503
	s_and_b32 s1, s1, 0xffff                                   // 000000002E3C: 8601FF01 0000FFFF
	s_mov_b32 s96, 0                                           // 000000002E44: BEE00080
	s_mov_b32 s97, 0                                           // 000000002E48: BEE10080
	s_mov_b32 s100, 0                                          // 000000002E4C: BEE40080
	s_load_dword s96, s[0:1], 0x1a0                            // 000000002E50: C0021800 000001A0
	s_load_dword s97, s[0:1], 0x1b0                            // 000000002E58: C0021840 000001B0
	s_waitcnt lgkmcnt(0)                                       // 000000002E60: BF8CC07F
	s_cmp_eq_u32 s96, 0                                        // 000000002E64: BF068060
	s_cbranch_scc1 label_005C                                  // 000000002E68: BF850041
	v_cvt_f32_u32_e32 v50, s97                                 // 000000002E6C: 7E640C61
	s_sub_i32 s60, 0, s97                                      // 000000002E70: 81BC6180
	v_rcp_iflag_f32_e32 v50, v50                               // 000000002E74: 7E644732
	s_nop 0                                                    // 000000002E78: BF800000
	v_mul_f32_e32 v50, 0x4f7ffffe, v50                         // 000000002E7C: 0A6464FF 4F7FFFFE
	v_cvt_u32_f32_e32 v50, v50                                 // 000000002E84: 7E640F32
	v_mul_lo_u32 v51, s60, v50                                 // 000000002E88: D2850033 0002643C
	v_mul_hi_u32 v51, v50, v51                                 // 000000002E90: D2860033 00026732
	v_add_u32_e32 v50, v50, v51                                // 000000002E98: 68646732
	v_mul_hi_u32 v50, s96, v50                                 // 000000002E9C: D2860032 00026460
	v_mul_lo_u32 v51, v50, s97                                 // 000000002EA4: D2850033 0000C332
	v_sub_u32_e32 v53, s96, v51                                // 000000002EAC: 6A6A6660
	v_add_u32_e32 v52, 1, v50                                  // 000000002EB0: 68686481
	v_cmp_le_u32_e32 vcc, s97, v53                             // 000000002EB4: 7D966A61
	v_subrev_u32_e32 v51, s97, v53                             // 000000002EB8: 6C666A61
	s_nop 0                                                    // 000000002EBC: BF800000
	v_cndmask_b32_e32 v50, v50, v52, vcc                       // 000000002EC0: 00646932
	v_cndmask_b32_e32 v53, v53, v51, vcc                       // 000000002EC4: 006A6735
	v_add_u32_e32 v51, 1, v50                                  // 000000002EC8: 68666481
	v_cmp_le_u32_e32 vcc, s97, v53                             // 000000002ECC: 7D966A61
	s_nop 1                                                    // 000000002ED0: BF800001
	v_cndmask_b32_e32 v53, v50, v51, vcc                       // 000000002ED4: 006A6732
	s_nop 3                                                    // 000000002ED8: BF800003
	v_readfirstlane_b32 s98, v53                               // 000000002EDC: 7EC40535
	s_nop 3                                                    // 000000002EE0: BF800003

0000000000002ee4 <label_0039>:
	s_mov_b32 s4, 0                                            // 000000002EE4: BE840080
	v_cvt_f32_u32_e32 v50, s97                                 // 000000002EE8: 7E640C61
	s_sub_i32 s60, 0, s97                                      // 000000002EEC: 81BC6180
	v_rcp_iflag_f32_e32 v50, v50                               // 000000002EF0: 7E644732
	s_nop 0                                                    // 000000002EF4: BF800000
	v_mul_f32_e32 v50, 0x4f7ffffe, v50                         // 000000002EF8: 0A6464FF 4F7FFFFE
	v_cvt_u32_f32_e32 v50, v50                                 // 000000002F00: 7E640F32
	v_mul_lo_u32 v51, s60, v50                                 // 000000002F04: D2850033 0002643C
	v_mul_hi_u32 v51, v50, v51                                 // 000000002F0C: D2860033 00026732
	v_add_u32_e32 v50, v50, v51                                // 000000002F14: 68646732
	v_mul_hi_u32 v50, s99, v50                                 // 000000002F18: D2860032 00026463
	v_mul_lo_u32 v51, v50, s97                                 // 000000002F20: D2850033 0000C332
	v_sub_u32_e32 v53, s99, v51                                // 000000002F28: 6A6A6663
	v_add_u32_e32 v52, 1, v50                                  // 000000002F2C: 68686481
	v_cmp_le_u32_e32 vcc, s97, v53                             // 000000002F30: 7D966A61
	v_subrev_u32_e32 v51, s97, v53                             // 000000002F34: 6C666A61
	s_nop 0                                                    // 000000002F38: BF800000
	v_cndmask_b32_e32 v50, v50, v52, vcc                       // 000000002F3C: 00646932
	v_cndmask_b32_e32 v53, v53, v51, vcc                       // 000000002F40: 006A6735
	v_add_u32_e32 v51, 1, v50                                  // 000000002F44: 68666481
	v_cmp_le_u32_e32 vcc, s97, v53                             // 000000002F48: 7D966A61
	s_nop 1                                                    // 000000002F4C: BF800001
	v_cndmask_b32_e32 v53, v50, v51, vcc                       // 000000002F50: 006A6732
	s_nop 3                                                    // 000000002F54: BF800003
	v_readfirstlane_b32 s3, v53                                // 000000002F58: 7E060535
	s_nop 3                                                    // 000000002F5C: BF800003
	s_mul_i32 s60, s3, s97                                     // 000000002F60: 923C6103
	s_sub_u32 s2, s99, s60                                     // 000000002F64: 80823C63
	s_mul_i32 s60, s98, s100                                   // 000000002F68: 923C6462
	s_add_i32 s3, s3, s60                                      // 000000002F6C: 81033C03

0000000000002f70 <label_005C>:
	s_and_b32 s1, s1, 0xffff                                   // 000000002F70: 8601FF01 0000FFFF
	s_load_dwordx2 s[8:9], s[0:1], 0x0                         // 000000002F78: C0060200 00000000
	s_load_dwordx2 s[20:21], s[0:1], 0x10                      // 000000002F80: C0060500 00000010
	s_load_dwordx2 s[24:25], s[0:1], 0x20                      // 000000002F88: C0060600 00000020
	s_load_dwordx2 s[50:51], s[0:1], 0x30                      // 000000002F90: C0060C80 00000030
	s_load_dwordx2 s[12:13], s[0:1], 0x40                      // 000000002F98: C0060300 00000040
	s_load_dwordx2 s[28:29], s[0:1], 0x50                      // 000000002FA0: C0060700 00000050
	s_load_dwordx2 s[32:33], s[0:1], 0x60                      // 000000002FA8: C0060800 00000060
	s_load_dwordx2 s[16:17], s[0:1], 0x70                      // 000000002FB0: C0060400 00000070
	s_load_dwordx2 s[36:37], s[0:1], 0x80                      // 000000002FB8: C0060900 00000080
	s_load_dwordx2 s[44:45], s[0:1], 0x90                      // 000000002FC0: C0060B00 00000090
	s_load_dwordx2 s[40:41], s[0:1], 0xa0                      // 000000002FC8: C0060A00 000000A0
	s_load_dwordx2 s[46:47], s[0:1], 0xb0                      // 000000002FD0: C0060B80 000000B0
	s_load_dword s64, s[0:1], 0xc0                             // 000000002FD8: C0021000 000000C0
	s_load_dword s65, s[0:1], 0xd0                             // 000000002FE0: C0021040 000000D0
	s_load_dword s67, s[0:1], 0xf0                             // 000000002FE8: C00210C0 000000F0
	s_load_dword s68, s[0:1], 0x100                            // 000000002FF0: C0021100 00000100
	s_load_dword s69, s[0:1], 0x110                            // 000000002FF8: C0021140 00000110
	s_load_dword s70, s[0:1], 0x120                            // 000000003000: C0021180 00000120
	s_load_dword s71, s[0:1], 0x130                            // 000000003008: C00211C0 00000130
	s_load_dword s72, s[0:1], 0x140                            // 000000003010: C0021200 00000140
	s_load_dword s73, s[0:1], 0x150                            // 000000003018: C0021240 00000150
	s_load_dword s74, s[0:1], 0x160                            // 000000003020: C0021280 00000160
	s_load_dword s75, s[0:1], 0x170                            // 000000003028: C00212C0 00000170
	s_load_dword s76, s[0:1], 0x180                            // 000000003030: C0021300 00000180
	s_load_dword s63, s[0:1], 0x190                            // 000000003038: C0020FC0 00000190
	s_mov_b32 s2, s2                                           // 000000003040: BE820002
	s_mov_b32 s3, s3                                           // 000000003044: BE830003
	s_mov_b32 s4, s4                                           // 000000003048: BE840004
	s_waitcnt lgkmcnt(0)                                       // 00000000304C: BF8CC07F
	s_and_b32 s51, s51, 0xffff                                 // 000000003050: 8633FF33 0000FFFF
	s_load_dword s66, s[50:51], 0x4                            // 000000003058: C0021099 00000004
	s_load_dword s50, s[50:51], 0x0                            // 000000003060: C0020C99 00000000
	s_waitcnt lgkmcnt(0)                                       // 000000003068: BF8CC07F
	s_and_b32 s45, s45, 0xffff                                 // 00000000306C: 862DFF2D 0000FFFF
	s_and_b32 s47, s47, 0xffff                                 // 000000003074: 862FFF2F 0000FFFF
	s_and_b32 s9, s9, 0xffff                                   // 00000000307C: 8609FF09 0000FFFF
	s_mul_i32 s60, s66, s68                                    // 000000003084: 923C4442
	s_mul_i32 s60, s63, s60                                    // 000000003088: 923C3C3F
	s_mul_i32 s61, s66, 4                                      // 00000000308C: 923D8442
	s_mul_i32 s61, s63, s61                                    // 000000003090: 923D3D3F
	s_mov_b32 s22, s60                                         // 000000003094: BE96003C
	s_mov_b32 s26, -16                                         // 000000003098: BE9A00D0
	s_mov_b32 s14, -16                                         // 00000000309C: BE8E00D0
	s_mov_b32 s42, -16                                         // 0000000030A0: BEAA00D0
	s_mov_b32 s30, s61                                         // 0000000030A4: BE9E003D
	s_mov_b32 s34, 0x800                                       // 0000000030A8: BEA200FF 00000800
	s_mov_b32 s38, 0x800                                       // 0000000030B0: BEA600FF 00000800
	s_mov_b32 s18, -16                                         // 0000000030B8: BE9200D0
	s_mov_b32 s23, 0x20000                                     // 0000000030BC: BE9700FF 00020000
	s_mov_b32 s27, 0x20000                                     // 0000000030C4: BE9B00FF 00020000
	s_mov_b32 s15, 0x20000                                     // 0000000030CC: BE8F00FF 00020000
	s_mov_b32 s43, 0x20000                                     // 0000000030D4: BEAB00FF 00020000
	s_mov_b32 s31, 0x20000                                     // 0000000030DC: BE9F00FF 00020000
	s_mov_b32 s35, 0x20000                                     // 0000000030E4: BEA300FF 00020000
	s_mov_b32 s39, 0x20000                                     // 0000000030EC: BEA700FF 00020000
	s_mov_b32 s19, 0x20000                                     // 0000000030F4: BE9300FF 00020000
	s_and_b32 s21, s21, 0xffff                                 // 0000000030FC: 8615FF15 0000FFFF
	s_and_b32 s25, s25, 0xffff                                 // 000000003104: 8619FF19 0000FFFF
	s_and_b32 s13, s13, 0xffff                                 // 00000000310C: 860DFF0D 0000FFFF
	s_and_b32 s41, s41, 0xffff                                 // 000000003114: 8629FF29 0000FFFF
	s_and_b32 s29, s29, 0xffff                                 // 00000000311C: 861DFF1D 0000FFFF
	s_and_b32 s33, s33, 0xffff                                 // 000000003124: 8621FF21 0000FFFF
	s_and_b32 s37, s37, 0xffff                                 // 00000000312C: 8625FF25 0000FFFF
	s_and_b32 s17, s17, 0xffff                                 // 000000003134: 8611FF11 0000FFFF
	s_or_b32 s21, s21, 0x40000                                 // 00000000313C: 8715FF15 00040000
	s_or_b32 s25, s25, 0x40000                                 // 000000003144: 8719FF19 00040000
	s_or_b32 s13, s13, 0x40000                                 // 00000000314C: 870DFF0D 00040000
	s_or_b32 s41, s41, 0x40000                                 // 000000003154: 8729FF29 00040000
	s_or_b32 s29, s29, 0x40000                                 // 00000000315C: 871DFF1D 00040000
	s_or_b32 s33, s33, 0x40000                                 // 000000003164: 8721FF21 00040000
	s_or_b32 s37, s37, 0x40000                                 // 00000000316C: 8725FF25 00040000
	s_or_b32 s17, s17, 0x40000                                 // 000000003174: 8711FF11 00040000
	v_accvgpr_write_b32 a255, 0                                // 00000000317C: D3D940FF 18000080
	v_mov_b32_e32 v255, 0                                      // 000000003184: 7FFE0280
	s_waitcnt lgkmcnt(0)                                       // 000000003188: BF8CC07F
	s_mul_i32 s60, s3, 32                                      // 00000000318C: 923CA003
	s_cmp_lt_i32 s60, s50                                      // 000000003190: BF04323C
	s_cbranch_scc0 label_1EBF                                  // 000000003194: BF841DD9
	s_mov_b32 s80, 0                                           // 000000003198: BED00080
	s_mov_b32 s81, s64                                         // 00000000319C: BED10040
	s_mul_i32 s60, s3, 4                                       // 0000000031A0: 923C8403
	s_add_u32 s46, s60, s46                                    // 0000000031A4: 802E2E3C
	s_addc_u32 s47, 0, s47                                     // 0000000031A8: 822F2F80
	s_load_dword s5, s[46:47], 0x0                             // 0000000031AC: C0020157 00000000
	s_mul_i32 s60, s3, 32                                      // 0000000031B4: 923CA003
	s_mul_i32 s60, 4, s60                                      // 0000000031B8: 923C3C84
	v_and_b32_e32 v50, 15, v0                                  // 0000000031BC: 2664008F
	v_lshlrev_b32_e32 v50, 2, v50                              // 0000000031C0: 24646482
	v_add_u32_e32 v50, s60, v50                                // 0000000031C4: 6864643C
	v_mov_b32_e32 v51, 0                                       // 0000000031C8: 7E660280
	global_load_dword v6, v50, s[44:45]                        // 0000000031CC: DC508000 062C0032
	v_add_u32_e32 v50, 64, v50                                 // 0000000031D4: 686464C0
	global_load_dword v7, v50, s[44:45]                        // 0000000031D8: DC508000 072C0032
	s_mul_i32 s60, s3, 32                                      // 0000000031E0: 923CA003
	s_add_u32 s60, s7, s60                                     // 0000000031E4: 803C3C07
	s_mul_i32 s60, 4, s60                                      // 0000000031E8: 923C3C84
	s_add_u32 s44, s60, s44                                    // 0000000031EC: 802C2C3C
	s_addc_u32 s45, 0, s45                                     // 0000000031F0: 822D2D80
	s_load_dword s82, s[44:45], 0x0                            // 0000000031F4: C0021496 00000000
	s_load_dword s83, s[44:45], 0x10                           // 0000000031FC: C00214D6 00000010
	s_load_dword s84, s[44:45], 0x20                           // 000000003204: C0021516 00000020
	s_load_dword s85, s[44:45], 0x30                           // 00000000320C: C0021556 00000030
	s_load_dword s86, s[44:45], 0x40                           // 000000003214: C0021596 00000040
	s_load_dword s87, s[44:45], 0x50                           // 00000000321C: C00215D6 00000050
	s_load_dword s88, s[44:45], 0x60                           // 000000003224: C0021616 00000060
	s_load_dword s89, s[44:45], 0x70                           // 00000000322C: C0021656 00000070
	s_waitcnt lgkmcnt(0)                                       // 000000003234: BF8CC07F
	v_lshlrev_b32_e32 v50, 2, v0                               // 000000003238: 24640082
	s_lshr_b32 s61, s82, 24                                    // 00000000323C: 8F3D9852
	s_mul_i32 s61, s61, s68                                    // 000000003240: 923D443D
	s_mul_i32 s61, s61, s66                                    // 000000003244: 923D423D
	s_and_b32 s82, s82, 0xffffff                               // 000000003248: 8652FF52 00FFFFFF
	s_mul_i32 s60, s82, s68                                    // 000000003250: 923C4452
	s_add_u32 s60, s61, s60                                    // 000000003254: 803C3C3D
	v_add_u32_e64 v26, v50, s60                                // 000000003258: D134001A 00007932
	s_lshr_b32 s61, s83, 24                                    // 000000003260: 8F3D9853
	s_mul_i32 s61, s61, s68                                    // 000000003264: 923D443D
	s_mul_i32 s61, s61, s66                                    // 000000003268: 923D423D
	s_and_b32 s83, s83, 0xffffff                               // 00000000326C: 8653FF53 00FFFFFF
	s_mul_i32 s60, s83, s68                                    // 000000003274: 923C4453
	s_add_u32 s60, s61, s60                                    // 000000003278: 803C3C3D
	v_add_u32_e64 v27, v50, s60                                // 00000000327C: D134001B 00007932
	s_lshr_b32 s61, s84, 24                                    // 000000003284: 8F3D9854
	s_mul_i32 s61, s61, s68                                    // 000000003288: 923D443D
	s_mul_i32 s61, s61, s66                                    // 00000000328C: 923D423D
	s_and_b32 s84, s84, 0xffffff                               // 000000003290: 8654FF54 00FFFFFF
	s_mul_i32 s60, s84, s68                                    // 000000003298: 923C4454
	s_add_u32 s60, s61, s60                                    // 00000000329C: 803C3C3D
	v_add_u32_e64 v28, v50, s60                                // 0000000032A0: D134001C 00007932
	s_lshr_b32 s61, s85, 24                                    // 0000000032A8: 8F3D9855
	s_mul_i32 s61, s61, s68                                    // 0000000032AC: 923D443D
	s_mul_i32 s61, s61, s66                                    // 0000000032B0: 923D423D
	s_and_b32 s85, s85, 0xffffff                               // 0000000032B4: 8655FF55 00FFFFFF
	s_mul_i32 s60, s85, s68                                    // 0000000032BC: 923C4455
	s_add_u32 s60, s61, s60                                    // 0000000032C0: 803C3C3D
	v_add_u32_e64 v29, v50, s60                                // 0000000032C4: D134001D 00007932
	s_lshr_b32 s61, s86, 24                                    // 0000000032CC: 8F3D9856
	s_mul_i32 s61, s61, s68                                    // 0000000032D0: 923D443D
	s_mul_i32 s61, s61, s66                                    // 0000000032D4: 923D423D
	s_and_b32 s86, s86, 0xffffff                               // 0000000032D8: 8656FF56 00FFFFFF
	s_mul_i32 s60, s86, s68                                    // 0000000032E0: 923C4456
	s_add_u32 s60, s61, s60                                    // 0000000032E4: 803C3C3D
	v_add_u32_e64 v30, v50, s60                                // 0000000032E8: D134001E 00007932
	s_lshr_b32 s61, s87, 24                                    // 0000000032F0: 8F3D9857
	s_mul_i32 s61, s61, s68                                    // 0000000032F4: 923D443D
	s_mul_i32 s61, s61, s66                                    // 0000000032F8: 923D423D
	s_and_b32 s87, s87, 0xffffff                               // 0000000032FC: 8657FF57 00FFFFFF
	s_mul_i32 s60, s87, s68                                    // 000000003304: 923C4457
	s_add_u32 s60, s61, s60                                    // 000000003308: 803C3C3D
	v_add_u32_e64 v31, v50, s60                                // 00000000330C: D134001F 00007932
	s_lshr_b32 s61, s88, 24                                    // 000000003314: 8F3D9858
	s_mul_i32 s61, s61, s68                                    // 000000003318: 923D443D
	s_mul_i32 s61, s61, s66                                    // 00000000331C: 923D423D
	s_and_b32 s88, s88, 0xffffff                               // 000000003320: 8658FF58 00FFFFFF
	s_mul_i32 s60, s88, s68                                    // 000000003328: 923C4458
	s_add_u32 s60, s61, s60                                    // 00000000332C: 803C3C3D
	v_add_u32_e64 v32, v50, s60                                // 000000003330: D1340020 00007932
	s_lshr_b32 s61, s89, 24                                    // 000000003338: 8F3D9859
	s_mul_i32 s61, s61, s68                                    // 00000000333C: 923D443D
	s_mul_i32 s61, s61, s66                                    // 000000003340: 923D423D
	s_and_b32 s89, s89, 0xffffff                               // 000000003344: 8659FF59 00FFFFFF
	s_mul_i32 s60, s89, s68                                    // 00000000334C: 923C4459
	s_add_u32 s60, s61, s60                                    // 000000003350: 803C3C3D
	v_add_u32_e64 v33, v50, s60                                // 000000003354: D1340021 00007932
	v_lshlrev_b32_e32 v50, 2, v0                               // 00000000335C: 24640082
	s_mul_i32 s60, s82, s71                                    // 000000003360: 923C4752
	v_add_u32_e64 v80, v50, s60                                // 000000003364: D1340050 00007932
	v_mov_b32_e32 v81, 0                                       // 00000000336C: 7EA20280
	s_mul_i32 s60, s83, s71                                    // 000000003370: 923C4753
	v_add_u32_e64 v82, v50, s60                                // 000000003374: D1340052 00007932
	v_mov_b32_e32 v83, 0                                       // 00000000337C: 7EA60280
	s_mul_i32 s60, s84, s71                                    // 000000003380: 923C4754
	v_add_u32_e64 v84, v50, s60                                // 000000003384: D1340054 00007932
	v_mov_b32_e32 v85, 0                                       // 00000000338C: 7EAA0280
	s_mul_i32 s60, s85, s71                                    // 000000003390: 923C4755
	v_add_u32_e64 v86, v50, s60                                // 000000003394: D1340056 00007932
	v_mov_b32_e32 v87, 0                                       // 00000000339C: 7EAE0280
	s_mul_i32 s60, s86, s71                                    // 0000000033A0: 923C4756
	v_add_u32_e64 v88, v50, s60                                // 0000000033A4: D1340058 00007932
	v_mov_b32_e32 v89, 0                                       // 0000000033AC: 7EB20280
	s_mul_i32 s60, s87, s71                                    // 0000000033B0: 923C4757
	v_add_u32_e64 v90, v50, s60                                // 0000000033B4: D134005A 00007932
	v_mov_b32_e32 v91, 0                                       // 0000000033BC: 7EB60280
	s_mul_i32 s60, s88, s71                                    // 0000000033C0: 923C4758
	v_add_u32_e64 v92, v50, s60                                // 0000000033C4: D134005C 00007932
	v_mov_b32_e32 v93, 0                                       // 0000000033CC: 7EBA0280
	s_mul_i32 s60, s89, s71                                    // 0000000033D0: 923C4759
	v_add_u32_e64 v94, v50, s60                                // 0000000033D4: D134005E 00007932
	v_mov_b32_e32 v95, 0                                       // 0000000033DC: 7EBE0280
	s_mul_i32 s60, s7, 0x820                                   // 0000000033E0: 923CFF07 00000820
	s_add_u32 s50, 0, s60                                      // 0000000033E8: 80323C80
	s_add_u32 s51, 0x2080, s50                                 // 0000000033EC: 803332FF 00002080
	v_lshrrev_b32_e32 v50, 4, v0                               // 0000000033F4: 20640084
	v_lshlrev_b32_e32 v51, 2, v50                              // 0000000033F8: 24666482
	v_and_b32_e32 v50, 15, v0                                  // 0000000033FC: 2664008F
	v_lshrrev_b32_e32 v52, 2, v50                              // 000000003400: 20686482
	v_lshlrev_b32_e32 v52, 6, v52                              // 000000003404: 24686886
	v_add_u32_e32 v51, v52, v51                                // 000000003408: 68666734
	v_and_b32_e32 v50, 3, v0                                   // 00000000340C: 26640083
	v_mul_i32_i24_e32 v52, 0x208, v50                          // 000000003410: 0C6864FF 00000208
	v_add_u32_e32 v51, v52, v51                                // 000000003418: 68666734
	v_lshlrev_b32_e32 v2, 2, v51                               // 00000000341C: 24046682
	s_mul_i32 s60, s2, 0x200                                   // 000000003420: 923CFF02 00000200
	s_mul_i32 s60, s60, s69                                    // 000000003428: 923C453C
	s_mul_i32 s61, s5, s72                                     // 00000000342C: 923D4805
	s_add_u32 s60, s61, s60                                    // 000000003430: 803C3C3D
	s_add_u32 s24, s60, s24                                    // 000000003434: 8018183C
	s_addc_u32 s25, 0, s25                                     // 000000003438: 82191980
	s_mul_i32 s60, s7, 16                                      // 00000000343C: 923C9007
	s_mul_i32 s60, s60, s69                                    // 000000003440: 923C453C
	v_lshlrev_b32_e32 v34, 4, v0                               // 000000003444: 24440084
	v_add_u32_e32 v34, s60, v34                                // 000000003448: 6844443C
	s_mul_i32 s60, 64, s69                                     // 00000000344C: 923C45C0
	v_add_u32_e32 v35, s60, v34                                // 000000003450: 6846443C
	v_add_u32_e32 v36, s60, v35                                // 000000003454: 6848463C
	v_add_u32_e32 v37, s60, v36                                // 000000003458: 684A483C
	v_add_u32_e32 v38, s60, v37                                // 00000000345C: 684C4A3C
	v_add_u32_e32 v39, s60, v38                                // 000000003460: 684E4C3C
	v_add_u32_e32 v40, s60, v39                                // 000000003464: 68504E3C
	v_add_u32_e32 v41, s60, v40                                // 000000003468: 6852503C
	s_mul_i32 s60, s2, 0x2000                                  // 00000000346C: 923CFF02 00002000
	s_mul_i32 s61, s5, s73                                     // 000000003474: 923D4905
	s_add_u32 s60, s61, s60                                    // 000000003478: 803C3C3D
	s_add_u32 s12, s60, s12                                    // 00000000347C: 800C0C3C
	s_addc_u32 s13, 0, s13                                     // 000000003480: 820D0D80
	s_mul_i32 s60, s7, 16                                      // 000000003484: 923C9007
	s_mul_i32 s60, s60, s70                                    // 000000003488: 923C463C
	v_lshlrev_b32_e32 v42, 4, v0                               // 00000000348C: 24540084
	v_add_u32_e32 v42, s60, v42                                // 000000003490: 6854543C
	s_mul_i32 s60, 64, s70                                     // 000000003494: 923C46C0
	v_add_u32_e32 v43, s60, v42                                // 000000003498: 6856543C
	v_add_u32_e32 v44, s60, v43                                // 00000000349C: 6858563C
	v_add_u32_e32 v45, s60, v44                                // 0000000034A0: 685A583C
	s_mul_i32 s60, s3, 32                                      // 0000000034A4: 923CA003
	s_mul_i32 s60, 4, s60                                      // 0000000034A8: 923C3C84
	s_add_u32 s40, s60, s40                                    // 0000000034AC: 8028283C
	s_addc_u32 s41, 0, s41                                     // 0000000034B0: 82292980
	v_and_b32_e32 v50, 15, v0                                  // 0000000034B4: 2664008F
	v_lshlrev_b32_e32 v8, 2, v50                               // 0000000034B8: 24106482
	v_add_u32_e32 v9, 64, v8                                   // 0000000034BC: 681210C0
	v_lshrrev_b32_e32 v50, 4, v0                               // 0000000034C0: 20640084
	v_lshlrev_b32_e32 v51, 2, v50                              // 0000000034C4: 24666482
	v_and_b32_e32 v50, 15, v0                                  // 0000000034C8: 2664008F
	v_lshrrev_b32_e32 v52, 2, v50                              // 0000000034CC: 20686482
	v_lshlrev_b32_e32 v52, 6, v52                              // 0000000034D0: 24686886
	v_add_u32_e32 v51, v52, v51                                // 0000000034D4: 68666734
	v_and_b32_e32 v50, 3, v0                                   // 0000000034D8: 26640083
	v_add_u32_e32 v51, v50, v51                                // 0000000034DC: 68666732
	v_lshlrev_b32_e32 v10, 2, v51                              // 0000000034E0: 24146682
	v_add_u32_e32 v11, 0x400, v10                              // 0000000034E4: 681614FF 00000400
	s_mul_i32 s60, s7, 16                                      // 0000000034EC: 923C9007
	s_mul_i32 s60, s60, 4                                      // 0000000034F0: 923C843C
	v_add_u32_e32 v10, s60, v10                                // 0000000034F4: 6814143C
	v_add_u32_e32 v11, s60, v11                                // 0000000034F8: 6816163C
	v_mov_b32_e32 v5, v10                                      // 0000000034FC: 7E0A030A
	s_mul_i32 s60, s2, 0x200                                   // 000000003500: 923CFF02 00000200
	s_mul_i32 s60, s60, 4                                      // 000000003508: 923C843C
	s_mul_i32 s61, s5, s74                                     // 00000000350C: 923D4A05
	s_add_u32 s61, s61, s60                                    // 000000003510: 803D3C3D
	s_mul_i32 s62, s5, s76                                     // 000000003514: 923E4C05
	s_add_u32 s62, s62, s60                                    // 000000003518: 803E3C3E
	s_add_u32 s32, s61, s32                                    // 00000000351C: 8020203D
	s_addc_u32 s33, 0, s33                                     // 000000003520: 82212180
	s_add_u32 s36, s62, s36                                    // 000000003524: 8024243E
	s_addc_u32 s37, 0, s37                                     // 000000003528: 82252580
	s_mul_i32 s60, s5, s75                                     // 00000000352C: 923C4B05
	s_add_u32 s16, s60, s16                                    // 000000003530: 8010103C
	s_addc_u32 s17, 0, s17                                     // 000000003534: 82111180
	s_mov_b32 s57, 0x100                                       // 000000003538: BEB900FF 00000100
	s_mov_b32 s58, 0x1000                                      // 000000003540: BEBA00FF 00001000
	s_mov_b32 s79, 0x400                                       // 000000003548: BECF00FF 00000400
	s_mov_b32 s59, 0x200                                       // 000000003550: BEBB00FF 00000200
	s_mul_i32 s60, s70, 0x100                                  // 000000003558: 923CFF46 00000100
	s_mov_b32 s78, 0x400                                       // 000000003560: BECE00FF 00000400
	s_mul_i32 s61, s78, 7                                      // 000000003568: 923D874E
	s_sub_u32 s56, s60, s61                                    // 00000000356C: 80B83D3C
	s_mov_b32 s52, 0x7060302                                   // 000000003570: BEB400FF 07060302
	s_mov_b32 s53, 0x400                                       // 000000003578: BEB500FF 00000400
	s_mov_b32 s54, 0x40100                                     // 000000003580: BEB600FF 00040100
	s_mov_b32 s55, 0x4020100                                   // 000000003588: BEB700FF 04020100
	s_mov_b32 s6, 0x3fb8aa3b                                   // 000000003590: BE8600FF 3FB8AA3B
	s_mov_b32 s77, 0xbd92220c                                  // 000000003598: BECD00FF BD92220C
	s_mov_b32 m0, s50                                          // 0000000035A0: BEFC0032
	v_mov_b32_e32 v1, 0xbfcc4231                               // 0000000035A4: 7E0202FF BFCC4231
	v_mov_b32_e32 v47, 0xffff0000                              // 0000000035AC: 7E5E02FF FFFF0000
	v_mov_b32_e32 v48, 0x7fff0000                              // 0000000035B4: 7E6002FF 7FFF0000
	v_mov_b32_e32 v49, 0x7fff                                  // 0000000035BC: 7E6202FF 00007FFF
	s_waitcnt vmcnt(0) expcnt(0) lgkmcnt(0)                    // 0000000035C4: BF8C0000
	v_lshrrev_b32_e32 v50, 24, v6                              // 0000000035C8: 20640C98
	v_mul_i32_i24_e32 v50, s66, v50                            // 0000000035CC: 0C646442
	v_and_b32_e32 v51, 0xffffff, v6                            // 0000000035D0: 26660CFF 00FFFFFF
	v_add_u32_e32 v6, v50, v51                                 // 0000000035D8: 680C6732
	v_lshrrev_b32_e32 v50, 24, v7                              // 0000000035DC: 20640E98
	v_mul_i32_i24_e32 v50, s66, v50                            // 0000000035E0: 0C646442
	v_and_b32_e32 v51, 0xffffff, v7                            // 0000000035E4: 26660EFF 00FFFFFF
	v_add_u32_e32 v7, v50, v51                                 // 0000000035EC: 680E6732
	v_lshlrev_b32_e32 v6, 2, v6                                // 0000000035F0: 240C0C82
	v_lshlrev_b32_e32 v7, 2, v7                                // 0000000035F4: 240E0E82
	buffer_load_dword v14, v6, s[28:31], 0 offen               // 0000000035F8: E0501000 80070E06
	buffer_load_dword v15, v7, s[28:31], 0 offen               // 000000003600: E0501000 80070F07
	buffer_load_dword v16, v10, s[32:35], 0 offen              // 000000003608: E0501000 8008100A
	buffer_load_dword v17, v11, s[32:35], 0 offen              // 000000003610: E0501000 8008110B
	buffer_load_dword v18, v10, s[36:39], 0 offen              // 000000003618: E0501000 8009120A
	buffer_load_dword v19, v11, s[36:39], 0 offen              // 000000003620: E0501000 8009130B
	buffer_load_dword v20, v8, s[40:43], 0 offen               // 000000003628: E0501000 800A1408
	buffer_load_dword v21, v9, s[40:43], 0 offen               // 000000003630: E0501000 800A1509
	buffer_load_dword v26, s[20:23], 0 offen lds               // 000000003638: E0511000 8005001A
	s_add_u32 m0, 0x100, s50                                   // 000000003640: 807C32FF 00000100
	buffer_load_dword v27, s[20:23], 0 offen lds               // 000000003648: E0511000 8005001B
	s_add_u32 m0, 0x200, s50                                   // 000000003650: 807C32FF 00000200
	buffer_load_dword v28, s[20:23], 0 offen lds               // 000000003658: E0511000 8005001C
	s_add_u32 m0, 0x300, s50                                   // 000000003660: 807C32FF 00000300
	buffer_load_dword v29, s[20:23], 0 offen lds               // 000000003668: E0511000 8005001D
	s_add_u32 m0, 0x400, s50                                   // 000000003670: 807C32FF 00000400
	buffer_load_dword v30, s[20:23], 0 offen lds               // 000000003678: E0511000 8005001E
	s_add_u32 m0, 0x500, s50                                   // 000000003680: 807C32FF 00000500
	buffer_load_dword v31, s[20:23], 0 offen lds               // 000000003688: E0511000 8005001F
	s_add_u32 m0, 0x600, s50                                   // 000000003690: 807C32FF 00000600
	buffer_load_dword v32, s[20:23], 0 offen lds               // 000000003698: E0511000 80050020
	s_add_u32 m0, 0x700, s50                                   // 0000000036A0: 807C32FF 00000700
	buffer_load_dword v33, s[20:23], 0 offen lds               // 0000000036A8: E0511000 80050021
	s_add_u32 m0, 0, s51                                       // 0000000036B0: 807C3380
	s_add_u32 s20, s57, s20                                    // 0000000036B4: 80141439
	s_addc_u32 s21, 0, s21                                     // 0000000036B8: 82151580
	buffer_load_dword v26, s[20:23], 0 offen lds               // 0000000036BC: E0511000 8005001A
	s_add_u32 m0, 0x100, s51                                   // 0000000036C4: 807C33FF 00000100
	buffer_load_dword v27, s[20:23], 0 offen lds               // 0000000036CC: E0511000 8005001B
	s_add_u32 m0, 0x200, s51                                   // 0000000036D4: 807C33FF 00000200
	buffer_load_dword v28, s[20:23], 0 offen lds               // 0000000036DC: E0511000 8005001C
	s_add_u32 m0, 0x300, s51                                   // 0000000036E4: 807C33FF 00000300
	buffer_load_dword v29, s[20:23], 0 offen lds               // 0000000036EC: E0511000 8005001D
	s_add_u32 m0, 0x400, s51                                   // 0000000036F4: 807C33FF 00000400
	buffer_load_dword v30, s[20:23], 0 offen lds               // 0000000036FC: E0511000 8005001E
	s_add_u32 m0, 0x500, s51                                   // 000000003704: 807C33FF 00000500
	buffer_load_dword v31, s[20:23], 0 offen lds               // 00000000370C: E0511000 8005001F
	s_add_u32 m0, 0x600, s51                                   // 000000003714: 807C33FF 00000600
	buffer_load_dword v32, s[20:23], 0 offen lds               // 00000000371C: E0511000 80050020
	s_add_u32 m0, 0x700, s51                                   // 000000003724: 807C33FF 00000700
	buffer_load_dword v33, s[20:23], 0 offen lds               // 00000000372C: E0511000 80050021
	s_add_u32 m0, 0, s50                                       // 000000003734: 807C3280
	s_add_u32 s20, s57, s20                                    // 000000003738: 80141439
	s_addc_u32 s21, 0, s21                                     // 00000000373C: 82151580
	buffer_load_dwordx4 a[0:3], v34, s[24:27], 0 offen         // 000000003740: E05C1000 80860022
	buffer_load_dwordx4 a[4:7], v34, s[24:27], 0 offen offset:1024// 000000003748: E05C1400 80860422
	buffer_load_dwordx4 a[8:11], v34, s[24:27], 0 offen offset:2048// 000000003750: E05C1800 80860822
	buffer_load_dwordx4 a[12:15], v34, s[24:27], 0 offen offset:3072// 000000003758: E05C1C00 80860C22
	buffer_load_dwordx4 a[16:19], v35, s[24:27], 0 offen       // 000000003760: E05C1000 80861023
	buffer_load_dwordx4 a[20:23], v35, s[24:27], 0 offen offset:1024// 000000003768: E05C1400 80861423
	buffer_load_dwordx4 a[24:27], v35, s[24:27], 0 offen offset:2048// 000000003770: E05C1800 80861823
	buffer_load_dwordx4 a[28:31], v35, s[24:27], 0 offen offset:3072// 000000003778: E05C1C00 80861C23
	buffer_load_dwordx4 a[32:35], v36, s[24:27], 0 offen       // 000000003780: E05C1000 80862024
	buffer_load_dwordx4 a[36:39], v36, s[24:27], 0 offen offset:1024// 000000003788: E05C1400 80862424
	buffer_load_dwordx4 a[40:43], v36, s[24:27], 0 offen offset:2048// 000000003790: E05C1800 80862824
	buffer_load_dwordx4 a[44:47], v36, s[24:27], 0 offen offset:3072// 000000003798: E05C1C00 80862C24
	buffer_load_dwordx4 a[48:51], v37, s[24:27], 0 offen       // 0000000037A0: E05C1000 80863025
	buffer_load_dwordx4 a[52:55], v37, s[24:27], 0 offen offset:1024// 0000000037A8: E05C1400 80863425
	buffer_load_dwordx4 a[56:59], v37, s[24:27], 0 offen offset:2048// 0000000037B0: E05C1800 80863825
	buffer_load_dwordx4 a[60:63], v37, s[24:27], 0 offen offset:3072// 0000000037B8: E05C1C00 80863C25
	buffer_load_dwordx4 a[64:67], v38, s[24:27], 0 offen       // 0000000037C0: E05C1000 80864026
	buffer_load_dwordx4 a[68:71], v38, s[24:27], 0 offen offset:1024// 0000000037C8: E05C1400 80864426
	buffer_load_dwordx4 a[72:75], v38, s[24:27], 0 offen offset:2048// 0000000037D0: E05C1800 80864826
	buffer_load_dwordx4 a[76:79], v38, s[24:27], 0 offen offset:3072// 0000000037D8: E05C1C00 80864C26
	buffer_load_dwordx4 a[80:83], v39, s[24:27], 0 offen       // 0000000037E0: E05C1000 80865027
	buffer_load_dwordx4 a[84:87], v39, s[24:27], 0 offen offset:1024// 0000000037E8: E05C1400 80865427
	buffer_load_dwordx4 a[88:91], v39, s[24:27], 0 offen offset:2048// 0000000037F0: E05C1800 80865827
	buffer_load_dwordx4 a[92:95], v39, s[24:27], 0 offen offset:3072// 0000000037F8: E05C1C00 80865C27
	buffer_load_dwordx4 a[96:99], v40, s[24:27], 0 offen       // 000000003800: E05C1000 80866028
	buffer_load_dwordx4 a[100:103], v40, s[24:27], 0 offen offset:1024// 000000003808: E05C1400 80866428
	buffer_load_dwordx4 a[104:107], v40, s[24:27], 0 offen offset:2048// 000000003810: E05C1800 80866828
	buffer_load_dwordx4 a[108:111], v40, s[24:27], 0 offen offset:3072// 000000003818: E05C1C00 80866C28
	buffer_load_dwordx4 a[112:115], v41, s[24:27], 0 offen     // 000000003820: E05C1000 80867029
	buffer_load_dwordx4 a[116:119], v41, s[24:27], 0 offen offset:1024// 000000003828: E05C1400 80867429
	buffer_load_dwordx4 a[120:123], v41, s[24:27], 0 offen offset:2048// 000000003830: E05C1800 80867829
	buffer_load_dwordx4 a[124:127], v41, s[24:27], 0 offen offset:3072// 000000003838: E05C1C00 80867C29
	s_add_u32 s24, s58, s24                                    // 000000003840: 8018183A
	s_addc_u32 s25, 0, s25                                     // 000000003844: 82191980
	v_mov_b32_e32 v128, 0                                      // 000000003848: 7F000280
	v_mov_b32_e32 v129, 0                                      // 00000000384C: 7F020280
	v_mov_b32_e32 v130, 0                                      // 000000003850: 7F040280
	v_mov_b32_e32 v131, 0                                      // 000000003854: 7F060280
	v_mov_b32_e32 v132, 0                                      // 000000003858: 7F080280
	v_mov_b32_e32 v133, 0                                      // 00000000385C: 7F0A0280
	v_mov_b32_e32 v134, 0                                      // 000000003860: 7F0C0280
	v_mov_b32_e32 v135, 0                                      // 000000003864: 7F0E0280
	v_mov_b32_e32 v136, 0                                      // 000000003868: 7F100280
	v_mov_b32_e32 v137, 0                                      // 00000000386C: 7F120280
	v_mov_b32_e32 v138, 0                                      // 000000003870: 7F140280
	v_mov_b32_e32 v139, 0                                      // 000000003874: 7F160280
	v_mov_b32_e32 v140, 0                                      // 000000003878: 7F180280
	v_mov_b32_e32 v141, 0                                      // 00000000387C: 7F1A0280
	v_mov_b32_e32 v142, 0                                      // 000000003880: 7F1C0280
	v_mov_b32_e32 v143, 0                                      // 000000003884: 7F1E0280
	v_mov_b32_e32 v144, 0                                      // 000000003888: 7F200280
	v_mov_b32_e32 v145, 0                                      // 00000000388C: 7F220280
	v_mov_b32_e32 v146, 0                                      // 000000003890: 7F240280
	v_mov_b32_e32 v147, 0                                      // 000000003894: 7F260280
	v_mov_b32_e32 v148, 0                                      // 000000003898: 7F280280
	v_mov_b32_e32 v149, 0                                      // 00000000389C: 7F2A0280
	v_mov_b32_e32 v150, 0                                      // 0000000038A0: 7F2C0280
	v_mov_b32_e32 v151, 0                                      // 0000000038A4: 7F2E0280
	v_mov_b32_e32 v152, 0                                      // 0000000038A8: 7F300280
	v_mov_b32_e32 v153, 0                                      // 0000000038AC: 7F320280
	v_mov_b32_e32 v154, 0                                      // 0000000038B0: 7F340280
	v_mov_b32_e32 v155, 0                                      // 0000000038B4: 7F360280
	v_mov_b32_e32 v156, 0                                      // 0000000038B8: 7F380280
	v_mov_b32_e32 v157, 0                                      // 0000000038BC: 7F3A0280
	v_mov_b32_e32 v158, 0                                      // 0000000038C0: 7F3C0280
	v_mov_b32_e32 v159, 0                                      // 0000000038C4: 7F3E0280
	v_mov_b32_e32 v160, 0                                      // 0000000038C8: 7F400280
	v_mov_b32_e32 v161, 0                                      // 0000000038CC: 7F420280
	v_mov_b32_e32 v162, 0                                      // 0000000038D0: 7F440280
	v_mov_b32_e32 v163, 0                                      // 0000000038D4: 7F460280
	v_mov_b32_e32 v164, 0                                      // 0000000038D8: 7F480280
	v_mov_b32_e32 v165, 0                                      // 0000000038DC: 7F4A0280
	v_mov_b32_e32 v166, 0                                      // 0000000038E0: 7F4C0280
	v_mov_b32_e32 v167, 0                                      // 0000000038E4: 7F4E0280
	v_mov_b32_e32 v168, 0                                      // 0000000038E8: 7F500280
	v_mov_b32_e32 v169, 0                                      // 0000000038EC: 7F520280
	v_mov_b32_e32 v170, 0                                      // 0000000038F0: 7F540280
	v_mov_b32_e32 v171, 0                                      // 0000000038F4: 7F560280
	v_mov_b32_e32 v172, 0                                      // 0000000038F8: 7F580280
	v_mov_b32_e32 v173, 0                                      // 0000000038FC: 7F5A0280
	v_mov_b32_e32 v174, 0                                      // 000000003900: 7F5C0280
	v_mov_b32_e32 v175, 0                                      // 000000003904: 7F5E0280
	v_mov_b32_e32 v176, 0                                      // 000000003908: 7F600280
	v_mov_b32_e32 v177, 0                                      // 00000000390C: 7F620280
	v_mov_b32_e32 v178, 0                                      // 000000003910: 7F640280
	v_mov_b32_e32 v179, 0                                      // 000000003914: 7F660280
	v_mov_b32_e32 v180, 0                                      // 000000003918: 7F680280
	v_mov_b32_e32 v181, 0                                      // 00000000391C: 7F6A0280
	v_mov_b32_e32 v182, 0                                      // 000000003920: 7F6C0280
	v_mov_b32_e32 v183, 0                                      // 000000003924: 7F6E0280
	v_mov_b32_e32 v184, 0                                      // 000000003928: 7F700280
	v_mov_b32_e32 v185, 0                                      // 00000000392C: 7F720280
	v_mov_b32_e32 v186, 0                                      // 000000003930: 7F740280
	v_mov_b32_e32 v187, 0                                      // 000000003934: 7F760280
	v_mov_b32_e32 v188, 0                                      // 000000003938: 7F780280
	v_mov_b32_e32 v189, 0                                      // 00000000393C: 7F7A0280
	v_mov_b32_e32 v190, 0                                      // 000000003940: 7F7C0280
	v_mov_b32_e32 v191, 0                                      // 000000003944: 7F7E0280
	v_lshrrev_b32_e32 v50, 4, v0                               // 000000003948: 20640084
	v_mul_i32_i24_e32 v3, 34, v50                              // 00000000394C: 0C0664A2
	v_and_b32_e32 v50, 15, v0                                  // 000000003950: 2664008F
	v_mul_i32_i24_e32 v51, 2, v50                              // 000000003954: 0C666482
	v_add_u32_e32 v3, v51, v3                                  // 000000003958: 68060733
	s_mul_i32 s60, s7, 0x88                                    // 00000000395C: 923CFF07 00000088
	v_add_u32_e32 v3, s60, v3                                  // 000000003964: 6806063C
	v_lshlrev_b32_e32 v3, 2, v3                                // 000000003968: 24060682
	v_lshrrev_b32_e32 v50, 1, v0                               // 00000000396C: 20640081
	v_mul_i32_i24_e32 v4, 34, v50                              // 000000003970: 0C0864A2
	v_and_b32_e32 v51, 1, v0                                   // 000000003974: 26660081
	v_add_u32_e32 v4, v51, v4                                  // 000000003978: 68080933
	s_mul_i32 s60, s7, 2                                       // 00000000397C: 923C8207
	v_add_u32_e32 v4, s60, v4                                  // 000000003980: 6808083C
	v_lshlrev_b32_e32 v4, 2, v4                                // 000000003984: 24080882
	s_waitcnt vmcnt(40)                                        // 000000003988: BF8C8F78
	s_barrier                                                  // 00000000398C: BF8A0000
	ds_read_b128 v[192:195], v2                                // 000000003990: D9FE0000 C0000002
	ds_read_b128 v[196:199], v2 offset:64                      // 000000003998: D9FE0040 C4000002
	ds_read_b128 v[200:203], v2 offset:128                     // 0000000039A0: D9FE0080 C8000002
	ds_read_b128 v[204:207], v2 offset:192                     // 0000000039A8: D9FE00C0 CC000002
	ds_read_b128 v[208:211], v2 offset:1024                    // 0000000039B0: D9FE0400 D0000002
	ds_read_b128 v[212:215], v2 offset:1088                    // 0000000039B8: D9FE0440 D4000002
	ds_read_b128 v[216:219], v2 offset:1152                    // 0000000039C0: D9FE0480 D8000002
	ds_read_b128 v[220:223], v2 offset:1216                    // 0000000039C8: D9FE04C0 DC000002
	s_cmp_lt_i32 s7, 2                                         // 0000000039D0: BF048207
	s_cbranch_scc0 label_10DA                                  // 0000000039D4: BF840DE4

00000000000039d8 <label_02F6>:
	s_waitcnt vmcnt(24) lgkmcnt(0)                             // 0000000039D8: BF8C4078
	s_barrier                                                  // 0000000039DC: BF8A0000
	v_mfma_i32_16x16x32_i8 v[128:131], a[0:1], v[192:193], v[128:131]// 0000000039E0: D3D70080 0E038100
	v_mfma_i32_16x16x32_i8 v[128:131], a[2:3], v[194:195], v[128:131]// 0000000039E8: D3D70080 0E038502
	buffer_load_dwordx4 a[128:131], v34, s[24:27], 0 offen     // 0000000039F0: E05C1000 80868022
	v_mfma_i32_16x16x32_i8 v[128:131], a[4:5], v[196:197], v[128:131]// 0000000039F8: D3D70080 0E038904
	v_mfma_i32_16x16x32_i8 v[128:131], a[6:7], v[198:199], v[128:131]// 000000003A00: D3D70080 0E038D06
	buffer_load_dword v26, s[20:23], 0 offen lds               // 000000003A08: E0511000 8005001A
	s_add_u32 m0, 0x100, s50                                   // 000000003A10: 807C32FF 00000100
	v_mfma_i32_16x16x32_i8 v[128:131], a[8:9], v[200:201], v[128:131]// 000000003A18: D3D70080 0E039108
	v_mfma_i32_16x16x32_i8 v[128:131], a[10:11], v[202:203], v[128:131]// 000000003A20: D3D70080 0E03950A
	buffer_load_dwordx4 a[132:135], v34, s[24:27], 0 offen offset:1024// 000000003A28: E05C1400 80868422
	v_mfma_i32_16x16x32_i8 v[128:131], a[12:13], v[204:205], v[128:131]// 000000003A30: D3D70080 0E03990C
	v_mfma_i32_16x16x32_i8 v[128:131], a[14:15], v[206:207], v[128:131]// 000000003A38: D3D70080 0E039D0E
	buffer_load_dword v27, s[20:23], 0 offen lds               // 000000003A40: E0511000 8005001B
	s_add_u32 m0, 0x200, s50                                   // 000000003A48: 807C32FF 00000200
	v_mfma_i32_16x16x32_i8 v[132:135], a[0:1], v[208:209], v[132:135]// 000000003A50: D3D70084 0E13A100
	v_mfma_i32_16x16x32_i8 v[132:135], a[2:3], v[210:211], v[132:135]// 000000003A58: D3D70084 0E13A502
	buffer_load_dwordx4 a[136:139], v34, s[24:27], 0 offen offset:2048// 000000003A60: E05C1800 80868822
	v_mfma_i32_16x16x32_i8 v[132:135], a[4:5], v[212:213], v[132:135]// 000000003A68: D3D70084 0E13A904
	v_mfma_i32_16x16x32_i8 v[132:135], a[6:7], v[214:215], v[132:135]// 000000003A70: D3D70084 0E13AD06
	buffer_load_dword v28, s[20:23], 0 offen lds               // 000000003A78: E0511000 8005001C
	s_add_u32 m0, 0x300, s50                                   // 000000003A80: 807C32FF 00000300
	v_mfma_i32_16x16x32_i8 v[132:135], a[8:9], v[216:217], v[132:135]// 000000003A88: D3D70084 0E13B108
	v_mfma_i32_16x16x32_i8 v[132:135], a[10:11], v[218:219], v[132:135]// 000000003A90: D3D70084 0E13B50A
	buffer_load_dwordx4 a[140:143], v34, s[24:27], 0 offen offset:3072// 000000003A98: E05C1C00 80868C22
	v_mfma_i32_16x16x32_i8 v[132:135], a[12:13], v[220:221], v[132:135]// 000000003AA0: D3D70084 0E13B90C
	v_mfma_i32_16x16x32_i8 v[132:135], a[14:15], v[222:223], v[132:135]// 000000003AA8: D3D70084 0E13BD0E
	buffer_load_dword v29, s[20:23], 0 offen lds               // 000000003AB0: E0511000 8005001D
	s_add_u32 m0, 0x400, s50                                   // 000000003AB8: 807C32FF 00000400
	v_mfma_i32_16x16x32_i8 v[136:139], a[16:17], v[192:193], v[136:139]// 000000003AC0: D3D70088 0E238110
	v_mfma_i32_16x16x32_i8 v[136:139], a[18:19], v[194:195], v[136:139]// 000000003AC8: D3D70088 0E238512
	buffer_load_dwordx4 a[144:147], v35, s[24:27], 0 offen     // 000000003AD0: E05C1000 80869023
	v_mfma_i32_16x16x32_i8 v[136:139], a[20:21], v[196:197], v[136:139]// 000000003AD8: D3D70088 0E238914
	v_mfma_i32_16x16x32_i8 v[136:139], a[22:23], v[198:199], v[136:139]// 000000003AE0: D3D70088 0E238D16
	buffer_load_dword v30, s[20:23], 0 offen lds               // 000000003AE8: E0511000 8005001E
	s_add_u32 m0, 0x500, s50                                   // 000000003AF0: 807C32FF 00000500
	v_mfma_i32_16x16x32_i8 v[136:139], a[24:25], v[200:201], v[136:139]// 000000003AF8: D3D70088 0E239118
	v_mfma_i32_16x16x32_i8 v[136:139], a[26:27], v[202:203], v[136:139]// 000000003B00: D3D70088 0E23951A
	buffer_load_dwordx4 a[148:151], v35, s[24:27], 0 offen offset:1024// 000000003B08: E05C1400 80869423
	v_mfma_i32_16x16x32_i8 v[136:139], a[28:29], v[204:205], v[136:139]// 000000003B10: D3D70088 0E23991C
	v_mfma_i32_16x16x32_i8 v[136:139], a[30:31], v[206:207], v[136:139]// 000000003B18: D3D70088 0E239D1E
	buffer_load_dword v31, s[20:23], 0 offen lds               // 000000003B20: E0511000 8005001F
	s_add_u32 m0, 0x600, s50                                   // 000000003B28: 807C32FF 00000600
	v_mfma_i32_16x16x32_i8 v[140:143], a[16:17], v[208:209], v[140:143]// 000000003B30: D3D7008C 0E33A110
	v_mfma_i32_16x16x32_i8 v[140:143], a[18:19], v[210:211], v[140:143]// 000000003B38: D3D7008C 0E33A512
	buffer_load_dwordx4 a[152:155], v35, s[24:27], 0 offen offset:2048// 000000003B40: E05C1800 80869823
	v_mfma_i32_16x16x32_i8 v[140:143], a[20:21], v[212:213], v[140:143]// 000000003B48: D3D7008C 0E33A914
	v_mfma_i32_16x16x32_i8 v[140:143], a[22:23], v[214:215], v[140:143]// 000000003B50: D3D7008C 0E33AD16
	buffer_load_dword v32, s[20:23], 0 offen lds               // 000000003B58: E0511000 80050020
	s_add_u32 m0, 0x700, s50                                   // 000000003B60: 807C32FF 00000700
	v_mfma_i32_16x16x32_i8 v[140:143], a[24:25], v[216:217], v[140:143]// 000000003B68: D3D7008C 0E33B118
	v_mfma_i32_16x16x32_i8 v[140:143], a[26:27], v[218:219], v[140:143]// 000000003B70: D3D7008C 0E33B51A
	buffer_load_dwordx4 a[156:159], v35, s[24:27], 0 offen offset:3072// 000000003B78: E05C1C00 80869C23
	v_mfma_i32_16x16x32_i8 v[140:143], a[28:29], v[220:221], v[140:143]// 000000003B80: D3D7008C 0E33B91C
	v_mfma_i32_16x16x32_i8 v[140:143], a[30:31], v[222:223], v[140:143]// 000000003B88: D3D7008C 0E33BD1E
	buffer_load_dword v33, s[20:23], 0 offen lds               // 000000003B90: E0511000 80050021
	s_add_u32 m0, 0, s51                                       // 000000003B98: 807C3380
	s_waitcnt vmcnt(36)                                        // 000000003B9C: BF8C8F74
	v_mfma_i32_16x16x32_i8 v[144:147], a[32:33], v[192:193], v[144:147]// 000000003BA0: D3D70090 0E438120
	v_mfma_i32_16x16x32_i8 v[144:147], a[34:35], v[194:195], v[144:147]// 000000003BA8: D3D70090 0E438522
	buffer_load_dwordx4 a[160:163], v36, s[24:27], 0 offen     // 000000003BB0: E05C1000 8086A024
	v_mfma_i32_16x16x32_i8 v[144:147], a[36:37], v[196:197], v[144:147]// 000000003BB8: D3D70090 0E438924
	v_mfma_i32_16x16x32_i8 v[144:147], a[38:39], v[198:199], v[144:147]// 000000003BC0: D3D70090 0E438D26
	ds_read_b128 v[224:227], v2 offset:8320                    // 000000003BC8: D9FE2080 E0000002
	v_mfma_i32_16x16x32_i8 v[144:147], a[40:41], v[200:201], v[144:147]// 000000003BD0: D3D70090 0E439128
	v_mfma_i32_16x16x32_i8 v[144:147], a[42:43], v[202:203], v[144:147]// 000000003BD8: D3D70090 0E43952A
	buffer_load_dwordx4 a[164:167], v36, s[24:27], 0 offen offset:1024// 000000003BE0: E05C1400 8086A424
	v_mfma_i32_16x16x32_i8 v[144:147], a[44:45], v[204:205], v[144:147]// 000000003BE8: D3D70090 0E43992C
	v_mfma_i32_16x16x32_i8 v[144:147], a[46:47], v[206:207], v[144:147]// 000000003BF0: D3D70090 0E439D2E
	ds_read_b128 v[228:231], v2 offset:8384                    // 000000003BF8: D9FE20C0 E4000002
	v_mfma_i32_16x16x32_i8 v[148:151], a[32:33], v[208:209], v[148:151]// 000000003C00: D3D70094 0E53A120
	v_mfma_i32_16x16x32_i8 v[148:151], a[34:35], v[210:211], v[148:151]// 000000003C08: D3D70094 0E53A522
	buffer_load_dwordx4 a[168:171], v36, s[24:27], 0 offen offset:2048// 000000003C10: E05C1800 8086A824
	v_mfma_i32_16x16x32_i8 v[148:151], a[36:37], v[212:213], v[148:151]// 000000003C18: D3D70094 0E53A924
	v_mfma_i32_16x16x32_i8 v[148:151], a[38:39], v[214:215], v[148:151]// 000000003C20: D3D70094 0E53AD26
	ds_read_b128 v[232:235], v2 offset:8448                    // 000000003C28: D9FE2100 E8000002
	v_mfma_i32_16x16x32_i8 v[148:151], a[40:41], v[216:217], v[148:151]// 000000003C30: D3D70094 0E53B128
	v_mfma_i32_16x16x32_i8 v[148:151], a[42:43], v[218:219], v[148:151]// 000000003C38: D3D70094 0E53B52A
	buffer_load_dwordx4 a[172:175], v36, s[24:27], 0 offen offset:3072// 000000003C40: E05C1C00 8086AC24
	v_mfma_i32_16x16x32_i8 v[148:151], a[44:45], v[220:221], v[148:151]// 000000003C48: D3D70094 0E53B92C
	v_mfma_i32_16x16x32_i8 v[148:151], a[46:47], v[222:223], v[148:151]// 000000003C50: D3D70094 0E53BD2E
	ds_read_b128 v[236:239], v2 offset:8512                    // 000000003C58: D9FE2140 EC000002
	s_waitcnt vmcnt(36)                                        // 000000003C60: BF8C8F74
	v_mfma_i32_16x16x32_i8 v[152:155], a[48:49], v[192:193], v[152:155]// 000000003C64: D3D70098 0E638130
	v_mfma_i32_16x16x32_i8 v[152:155], a[50:51], v[194:195], v[152:155]// 000000003C6C: D3D70098 0E638532
	buffer_load_dwordx4 a[176:179], v37, s[24:27], 0 offen     // 000000003C74: E05C1000 8086B025
	v_mfma_i32_16x16x32_i8 v[152:155], a[52:53], v[196:197], v[152:155]// 000000003C7C: D3D70098 0E638934
	v_mfma_i32_16x16x32_i8 v[152:155], a[54:55], v[198:199], v[152:155]// 000000003C84: D3D70098 0E638D36
	ds_read_b128 v[240:243], v2 offset:9344                    // 000000003C8C: D9FE2480 F0000002
	v_mfma_i32_16x16x32_i8 v[152:155], a[56:57], v[200:201], v[152:155]// 000000003C94: D3D70098 0E639138
	v_mfma_i32_16x16x32_i8 v[152:155], a[58:59], v[202:203], v[152:155]// 000000003C9C: D3D70098 0E63953A
	buffer_load_dwordx4 a[180:183], v37, s[24:27], 0 offen offset:1024// 000000003CA4: E05C1400 8086B425
	v_mfma_i32_16x16x32_i8 v[152:155], a[60:61], v[204:205], v[152:155]// 000000003CAC: D3D70098 0E63993C
	v_mfma_i32_16x16x32_i8 v[152:155], a[62:63], v[206:207], v[152:155]// 000000003CB4: D3D70098 0E639D3E
	ds_read_b128 v[244:247], v2 offset:9408                    // 000000003CBC: D9FE24C0 F4000002
	v_mfma_i32_16x16x32_i8 v[156:159], a[48:49], v[208:209], v[156:159]// 000000003CC4: D3D7009C 0E73A130
	v_mfma_i32_16x16x32_i8 v[156:159], a[50:51], v[210:211], v[156:159]// 000000003CCC: D3D7009C 0E73A532
	buffer_load_dwordx4 a[184:187], v37, s[24:27], 0 offen offset:2048// 000000003CD4: E05C1800 8086B825
	v_mfma_i32_16x16x32_i8 v[156:159], a[52:53], v[212:213], v[156:159]// 000000003CDC: D3D7009C 0E73A934
	v_mfma_i32_16x16x32_i8 v[156:159], a[54:55], v[214:215], v[156:159]// 000000003CE4: D3D7009C 0E73AD36
	ds_read_b128 v[248:251], v2 offset:9472                    // 000000003CEC: D9FE2500 F8000002
	v_mfma_i32_16x16x32_i8 v[156:159], a[56:57], v[216:217], v[156:159]// 000000003CF4: D3D7009C 0E73B138
	v_mfma_i32_16x16x32_i8 v[156:159], a[58:59], v[218:219], v[156:159]// 000000003CFC: D3D7009C 0E73B53A
	buffer_load_dwordx4 a[188:191], v37, s[24:27], 0 offen offset:3072// 000000003D04: E05C1C00 8086BC25
	v_mfma_i32_16x16x32_i8 v[156:159], a[60:61], v[220:221], v[156:159]// 000000003D0C: D3D7009C 0E73B93C
	v_mfma_i32_16x16x32_i8 v[156:159], a[62:63], v[222:223], v[156:159]// 000000003D14: D3D7009C 0E73BD3E
	ds_read_b128 v[252:255], v2 offset:9536                    // 000000003D1C: D9FE2540 FC000002
	s_waitcnt vmcnt(36)                                        // 000000003D24: BF8C8F74
	v_mfma_i32_16x16x32_i8 v[160:163], a[64:65], v[192:193], v[160:163]// 000000003D28: D3D700A0 0E838140
	v_mfma_i32_16x16x32_i8 v[160:163], a[66:67], v[194:195], v[160:163]// 000000003D30: D3D700A0 0E838542
	buffer_load_dwordx4 a[192:195], v38, s[24:27], 0 offen     // 000000003D38: E05C1000 8086C026
	v_mfma_i32_16x16x32_i8 v[160:163], a[68:69], v[196:197], v[160:163]// 000000003D40: D3D700A0 0E838944
	v_mfma_i32_16x16x32_i8 v[160:163], a[70:71], v[198:199], v[160:163]// 000000003D48: D3D700A0 0E838D46
	v_mfma_i32_16x16x32_i8 v[160:163], a[72:73], v[200:201], v[160:163]// 000000003D50: D3D700A0 0E839148
	v_mfma_i32_16x16x32_i8 v[160:163], a[74:75], v[202:203], v[160:163]// 000000003D58: D3D700A0 0E83954A
	buffer_load_dwordx4 a[196:199], v38, s[24:27], 0 offen offset:1024// 000000003D60: E05C1400 8086C426
	v_mfma_i32_16x16x32_i8 v[160:163], a[76:77], v[204:205], v[160:163]// 000000003D68: D3D700A0 0E83994C
	v_mfma_i32_16x16x32_i8 v[160:163], a[78:79], v[206:207], v[160:163]// 000000003D70: D3D700A0 0E839D4E
	v_mfma_i32_16x16x32_i8 v[164:167], a[64:65], v[208:209], v[164:167]// 000000003D78: D3D700A4 0E93A140
	v_mfma_i32_16x16x32_i8 v[164:167], a[66:67], v[210:211], v[164:167]// 000000003D80: D3D700A4 0E93A542
	buffer_load_dwordx4 a[200:203], v38, s[24:27], 0 offen offset:2048// 000000003D88: E05C1800 8086C826
	v_mfma_i32_16x16x32_i8 v[164:167], a[68:69], v[212:213], v[164:167]// 000000003D90: D3D700A4 0E93A944
	v_mfma_i32_16x16x32_i8 v[164:167], a[70:71], v[214:215], v[164:167]// 000000003D98: D3D700A4 0E93AD46
	v_mfma_i32_16x16x32_i8 v[164:167], a[72:73], v[216:217], v[164:167]// 000000003DA0: D3D700A4 0E93B148
	v_mfma_i32_16x16x32_i8 v[164:167], a[74:75], v[218:219], v[164:167]// 000000003DA8: D3D700A4 0E93B54A
	buffer_load_dwordx4 a[204:207], v38, s[24:27], 0 offen offset:3072// 000000003DB0: E05C1C00 8086CC26
	v_mfma_i32_16x16x32_i8 v[164:167], a[76:77], v[220:221], v[164:167]// 000000003DB8: D3D700A4 0E93B94C
	v_mfma_i32_16x16x32_i8 v[164:167], a[78:79], v[222:223], v[164:167]// 000000003DC0: D3D700A4 0E93BD4E
	s_waitcnt vmcnt(36)                                        // 000000003DC8: BF8C8F74
	v_mfma_i32_16x16x32_i8 v[168:171], a[80:81], v[192:193], v[168:171]// 000000003DCC: D3D700A8 0EA38150
	v_mfma_i32_16x16x32_i8 v[168:171], a[82:83], v[194:195], v[168:171]// 000000003DD4: D3D700A8 0EA38552
	buffer_load_dwordx4 a[208:211], v39, s[24:27], 0 offen     // 000000003DDC: E05C1000 8086D027
	v_mfma_i32_16x16x32_i8 v[168:171], a[84:85], v[196:197], v[168:171]// 000000003DE4: D3D700A8 0EA38954
	v_mfma_i32_16x16x32_i8 v[168:171], a[86:87], v[198:199], v[168:171]// 000000003DEC: D3D700A8 0EA38D56
	v_mfma_i32_16x16x32_i8 v[168:171], a[88:89], v[200:201], v[168:171]// 000000003DF4: D3D700A8 0EA39158
	v_mfma_i32_16x16x32_i8 v[168:171], a[90:91], v[202:203], v[168:171]// 000000003DFC: D3D700A8 0EA3955A
	buffer_load_dwordx4 a[212:215], v39, s[24:27], 0 offen offset:1024// 000000003E04: E05C1400 8086D427
	v_mfma_i32_16x16x32_i8 v[168:171], a[92:93], v[204:205], v[168:171]// 000000003E0C: D3D700A8 0EA3995C
	v_mfma_i32_16x16x32_i8 v[168:171], a[94:95], v[206:207], v[168:171]// 000000003E14: D3D700A8 0EA39D5E
	v_mfma_i32_16x16x32_i8 v[172:175], a[80:81], v[208:209], v[172:175]// 000000003E1C: D3D700AC 0EB3A150
	v_mfma_i32_16x16x32_i8 v[172:175], a[82:83], v[210:211], v[172:175]// 000000003E24: D3D700AC 0EB3A552
	buffer_load_dwordx4 a[216:219], v39, s[24:27], 0 offen offset:2048// 000000003E2C: E05C1800 8086D827
	v_mfma_i32_16x16x32_i8 v[172:175], a[84:85], v[212:213], v[172:175]// 000000003E34: D3D700AC 0EB3A954
	v_mfma_i32_16x16x32_i8 v[172:175], a[86:87], v[214:215], v[172:175]// 000000003E3C: D3D700AC 0EB3AD56
	v_mfma_i32_16x16x32_i8 v[172:175], a[88:89], v[216:217], v[172:175]// 000000003E44: D3D700AC 0EB3B158
	v_mfma_i32_16x16x32_i8 v[172:175], a[90:91], v[218:219], v[172:175]// 000000003E4C: D3D700AC 0EB3B55A
	buffer_load_dwordx4 a[220:223], v39, s[24:27], 0 offen offset:3072// 000000003E54: E05C1C00 8086DC27
	v_mfma_i32_16x16x32_i8 v[172:175], a[92:93], v[220:221], v[172:175]// 000000003E5C: D3D700AC 0EB3B95C
	v_mfma_i32_16x16x32_i8 v[172:175], a[94:95], v[222:223], v[172:175]// 000000003E64: D3D700AC 0EB3BD5E
	s_waitcnt vmcnt(36)                                        // 000000003E6C: BF8C8F74
	v_mfma_i32_16x16x32_i8 v[176:179], a[96:97], v[192:193], v[176:179]// 000000003E70: D3D700B0 0EC38160
	v_mfma_i32_16x16x32_i8 v[176:179], a[98:99], v[194:195], v[176:179]// 000000003E78: D3D700B0 0EC38562
	buffer_load_dwordx4 a[224:227], v40, s[24:27], 0 offen     // 000000003E80: E05C1000 8086E028
	v_mfma_i32_16x16x32_i8 v[176:179], a[100:101], v[196:197], v[176:179]// 000000003E88: D3D700B0 0EC38964
	v_mfma_i32_16x16x32_i8 v[176:179], a[102:103], v[198:199], v[176:179]// 000000003E90: D3D700B0 0EC38D66
	v_mfma_i32_16x16x32_i8 v[176:179], a[104:105], v[200:201], v[176:179]// 000000003E98: D3D700B0 0EC39168
	v_mfma_i32_16x16x32_i8 v[176:179], a[106:107], v[202:203], v[176:179]// 000000003EA0: D3D700B0 0EC3956A
	buffer_load_dwordx4 a[228:231], v40, s[24:27], 0 offen offset:1024// 000000003EA8: E05C1400 8086E428
	v_mfma_i32_16x16x32_i8 v[176:179], a[108:109], v[204:205], v[176:179]// 000000003EB0: D3D700B0 0EC3996C
	v_mfma_i32_16x16x32_i8 v[176:179], a[110:111], v[206:207], v[176:179]// 000000003EB8: D3D700B0 0EC39D6E
	v_mfma_i32_16x16x32_i8 v[180:183], a[96:97], v[208:209], v[180:183]// 000000003EC0: D3D700B4 0ED3A160
	v_mfma_i32_16x16x32_i8 v[180:183], a[98:99], v[210:211], v[180:183]// 000000003EC8: D3D700B4 0ED3A562
	buffer_load_dwordx4 a[232:235], v40, s[24:27], 0 offen offset:2048// 000000003ED0: E05C1800 8086E828
	v_mfma_i32_16x16x32_i8 v[180:183], a[100:101], v[212:213], v[180:183]// 000000003ED8: D3D700B4 0ED3A964
	v_mfma_i32_16x16x32_i8 v[180:183], a[102:103], v[214:215], v[180:183]// 000000003EE0: D3D700B4 0ED3AD66
	v_mfma_i32_16x16x32_i8 v[180:183], a[104:105], v[216:217], v[180:183]// 000000003EE8: D3D700B4 0ED3B168
	v_mfma_i32_16x16x32_i8 v[180:183], a[106:107], v[218:219], v[180:183]// 000000003EF0: D3D700B4 0ED3B56A
	buffer_load_dwordx4 a[236:239], v40, s[24:27], 0 offen offset:3072// 000000003EF8: E05C1C00 8086EC28
	v_mfma_i32_16x16x32_i8 v[180:183], a[108:109], v[220:221], v[180:183]// 000000003F00: D3D700B4 0ED3B96C
	v_mfma_i32_16x16x32_i8 v[180:183], a[110:111], v[222:223], v[180:183]// 000000003F08: D3D700B4 0ED3BD6E
	s_waitcnt vmcnt(36)                                        // 000000003F10: BF8C8F74
	v_mfma_i32_16x16x32_i8 v[184:187], a[112:113], v[192:193], v[184:187]// 000000003F14: D3D700B8 0EE38170
	v_mfma_i32_16x16x32_i8 v[184:187], a[114:115], v[194:195], v[184:187]// 000000003F1C: D3D700B8 0EE38572
	buffer_load_dwordx4 a[240:243], v41, s[24:27], 0 offen     // 000000003F24: E05C1000 8086F029
	v_mfma_i32_16x16x32_i8 v[184:187], a[116:117], v[196:197], v[184:187]// 000000003F2C: D3D700B8 0EE38974
	v_mfma_i32_16x16x32_i8 v[184:187], a[118:119], v[198:199], v[184:187]// 000000003F34: D3D700B8 0EE38D76
	v_mfma_i32_16x16x32_i8 v[184:187], a[120:121], v[200:201], v[184:187]// 000000003F3C: D3D700B8 0EE39178
	v_mfma_i32_16x16x32_i8 v[184:187], a[122:123], v[202:203], v[184:187]// 000000003F44: D3D700B8 0EE3957A
	buffer_load_dwordx4 a[244:247], v41, s[24:27], 0 offen offset:1024// 000000003F4C: E05C1400 8086F429
	v_mfma_i32_16x16x32_i8 v[184:187], a[124:125], v[204:205], v[184:187]// 000000003F54: D3D700B8 0EE3997C
	v_mfma_i32_16x16x32_i8 v[184:187], a[126:127], v[206:207], v[184:187]// 000000003F5C: D3D700B8 0EE39D7E
	v_mfma_i32_16x16x32_i8 v[188:191], a[112:113], v[208:209], v[188:191]// 000000003F64: D3D700BC 0EF3A170
	v_mfma_i32_16x16x32_i8 v[188:191], a[114:115], v[210:211], v[188:191]// 000000003F6C: D3D700BC 0EF3A572
	buffer_load_dwordx4 a[248:251], v41, s[24:27], 0 offen offset:2048// 000000003F74: E05C1800 8086F829
	v_mfma_i32_16x16x32_i8 v[188:191], a[116:117], v[212:213], v[188:191]// 000000003F7C: D3D700BC 0EF3A974
	v_mfma_i32_16x16x32_i8 v[188:191], a[118:119], v[214:215], v[188:191]// 000000003F84: D3D700BC 0EF3AD76
	v_mfma_i32_16x16x32_i8 v[188:191], a[120:121], v[216:217], v[188:191]// 000000003F8C: D3D700BC 0EF3B178
	v_mfma_i32_16x16x32_i8 v[188:191], a[122:123], v[218:219], v[188:191]// 000000003F94: D3D700BC 0EF3B57A
	buffer_load_dwordx4 a[252:255], v41, s[24:27], 0 offen offset:3072// 000000003F9C: E05C1C00 8086FC29
	v_mfma_i32_16x16x32_i8 v[188:191], a[124:125], v[220:221], v[188:191]// 000000003FA4: D3D700BC 0EF3B97C
	v_mfma_i32_16x16x32_i8 v[188:191], a[126:127], v[222:223], v[188:191]// 000000003FAC: D3D700BC 0EF3BD7E
	s_add_u32 s60, 0x300, s80                                  // 000000003FB4: 803C50FF 00000300
	s_cmp_lt_u32 s60, s81                                      // 000000003FBC: BF0A513C
	s_cselect_b32 s57, s57, 0                                  // 000000003FC0: 85398039
	s_add_u32 s60, 0x200, s80                                  // 000000003FC4: 803C50FF 00000200
	s_cmp_lt_u32 s60, s81                                      // 000000003FCC: BF0A513C
	s_cselect_b32 s58, s58, 0                                  // 000000003FD0: 853A803A
	s_add_u32 s20, s57, s20                                    // 000000003FD4: 80141439
	s_addc_u32 s21, 0, s21                                     // 000000003FD8: 82151580
	s_add_u32 s24, s58, s24                                    // 000000003FDC: 8018183A
	s_addc_u32 s25, 0, s25                                     // 000000003FE0: 82191980
	s_addk_i32 s80, 0x100                                      // 000000003FE4: B7500100
	s_cmp_lt_i32 s80, s81                                      // 000000003FE8: BF045150
	s_cbranch_scc0 label_0603                                  // 000000003FEC: BF840187
	s_waitcnt vmcnt(24) lgkmcnt(0)                             // 000000003FF0: BF8C4078
	s_barrier                                                  // 000000003FF4: BF8A0000
	v_mfma_i32_16x16x32_i8 v[128:131], a[128:129], v[224:225], v[128:131]// 000000003FF8: D3D70080 0E03C180
	v_mfma_i32_16x16x32_i8 v[128:131], a[130:131], v[226:227], v[128:131]// 000000004000: D3D70080 0E03C582
	buffer_load_dwordx4 a[0:3], v34, s[24:27], 0 offen         // 000000004008: E05C1000 80860022
	v_mfma_i32_16x16x32_i8 v[128:131], a[132:133], v[228:229], v[128:131]// 000000004010: D3D70080 0E03C984
	v_mfma_i32_16x16x32_i8 v[128:131], a[134:135], v[230:231], v[128:131]// 000000004018: D3D70080 0E03CD86
	buffer_load_dword v26, s[20:23], 0 offen lds               // 000000004020: E0511000 8005001A
	s_add_u32 m0, 0x100, s51                                   // 000000004028: 807C33FF 00000100
	v_mfma_i32_16x16x32_i8 v[128:131], a[136:137], v[232:233], v[128:131]// 000000004030: D3D70080 0E03D188
	v_mfma_i32_16x16x32_i8 v[128:131], a[138:139], v[234:235], v[128:131]// 000000004038: D3D70080 0E03D58A
	buffer_load_dwordx4 a[4:7], v34, s[24:27], 0 offen offset:1024// 000000004040: E05C1400 80860422
	v_mfma_i32_16x16x32_i8 v[128:131], a[140:141], v[236:237], v[128:131]// 000000004048: D3D70080 0E03D98C
	v_mfma_i32_16x16x32_i8 v[128:131], a[142:143], v[238:239], v[128:131]// 000000004050: D3D70080 0E03DD8E
	buffer_load_dword v27, s[20:23], 0 offen lds               // 000000004058: E0511000 8005001B
	s_add_u32 m0, 0x200, s51                                   // 000000004060: 807C33FF 00000200
	v_mfma_i32_16x16x32_i8 v[132:135], a[128:129], v[240:241], v[132:135]// 000000004068: D3D70084 0E13E180
	v_mfma_i32_16x16x32_i8 v[132:135], a[130:131], v[242:243], v[132:135]// 000000004070: D3D70084 0E13E582
	buffer_load_dwordx4 a[8:11], v34, s[24:27], 0 offen offset:2048// 000000004078: E05C1800 80860822
	v_mfma_i32_16x16x32_i8 v[132:135], a[132:133], v[244:245], v[132:135]// 000000004080: D3D70084 0E13E984
	v_mfma_i32_16x16x32_i8 v[132:135], a[134:135], v[246:247], v[132:135]// 000000004088: D3D70084 0E13ED86
	buffer_load_dword v28, s[20:23], 0 offen lds               // 000000004090: E0511000 8005001C
	s_add_u32 m0, 0x300, s51                                   // 000000004098: 807C33FF 00000300
	v_mfma_i32_16x16x32_i8 v[132:135], a[136:137], v[248:249], v[132:135]// 0000000040A0: D3D70084 0E13F188
	v_mfma_i32_16x16x32_i8 v[132:135], a[138:139], v[250:251], v[132:135]// 0000000040A8: D3D70084 0E13F58A
	buffer_load_dwordx4 a[12:15], v34, s[24:27], 0 offen offset:3072// 0000000040B0: E05C1C00 80860C22
	v_mfma_i32_16x16x32_i8 v[132:135], a[140:141], v[252:253], v[132:135]// 0000000040B8: D3D70084 0E13F98C
	v_mfma_i32_16x16x32_i8 v[132:135], a[142:143], v[254:255], v[132:135]// 0000000040C0: D3D70084 0E13FD8E
	buffer_load_dword v29, s[20:23], 0 offen lds               // 0000000040C8: E0511000 8005001D
	s_add_u32 m0, 0x400, s51                                   // 0000000040D0: 807C33FF 00000400
	v_mfma_i32_16x16x32_i8 v[136:139], a[144:145], v[224:225], v[136:139]// 0000000040D8: D3D70088 0E23C190
	v_mfma_i32_16x16x32_i8 v[136:139], a[146:147], v[226:227], v[136:139]// 0000000040E0: D3D70088 0E23C592
	buffer_load_dwordx4 a[16:19], v35, s[24:27], 0 offen       // 0000000040E8: E05C1000 80861023
	v_mfma_i32_16x16x32_i8 v[136:139], a[148:149], v[228:229], v[136:139]// 0000000040F0: D3D70088 0E23C994
	v_mfma_i32_16x16x32_i8 v[136:139], a[150:151], v[230:231], v[136:139]// 0000000040F8: D3D70088 0E23CD96
	buffer_load_dword v30, s[20:23], 0 offen lds               // 000000004100: E0511000 8005001E
	s_add_u32 m0, 0x500, s51                                   // 000000004108: 807C33FF 00000500
	v_mfma_i32_16x16x32_i8 v[136:139], a[152:153], v[232:233], v[136:139]// 000000004110: D3D70088 0E23D198
	v_mfma_i32_16x16x32_i8 v[136:139], a[154:155], v[234:235], v[136:139]// 000000004118: D3D70088 0E23D59A
	buffer_load_dwordx4 a[20:23], v35, s[24:27], 0 offen offset:1024// 000000004120: E05C1400 80861423
	v_mfma_i32_16x16x32_i8 v[136:139], a[156:157], v[236:237], v[136:139]// 000000004128: D3D70088 0E23D99C
	v_mfma_i32_16x16x32_i8 v[136:139], a[158:159], v[238:239], v[136:139]// 000000004130: D3D70088 0E23DD9E
	buffer_load_dword v31, s[20:23], 0 offen lds               // 000000004138: E0511000 8005001F
	s_add_u32 m0, 0x600, s51                                   // 000000004140: 807C33FF 00000600
	v_mfma_i32_16x16x32_i8 v[140:143], a[144:145], v[240:241], v[140:143]// 000000004148: D3D7008C 0E33E190
	v_mfma_i32_16x16x32_i8 v[140:143], a[146:147], v[242:243], v[140:143]// 000000004150: D3D7008C 0E33E592
	buffer_load_dwordx4 a[24:27], v35, s[24:27], 0 offen offset:2048// 000000004158: E05C1800 80861823
	v_mfma_i32_16x16x32_i8 v[140:143], a[148:149], v[244:245], v[140:143]// 000000004160: D3D7008C 0E33E994
	v_mfma_i32_16x16x32_i8 v[140:143], a[150:151], v[246:247], v[140:143]// 000000004168: D3D7008C 0E33ED96
	buffer_load_dword v32, s[20:23], 0 offen lds               // 000000004170: E0511000 80050020
	s_add_u32 m0, 0x700, s51                                   // 000000004178: 807C33FF 00000700
	v_mfma_i32_16x16x32_i8 v[140:143], a[152:153], v[248:249], v[140:143]// 000000004180: D3D7008C 0E33F198
	v_mfma_i32_16x16x32_i8 v[140:143], a[154:155], v[250:251], v[140:143]// 000000004188: D3D7008C 0E33F59A
	buffer_load_dwordx4 a[28:31], v35, s[24:27], 0 offen offset:3072// 000000004190: E05C1C00 80861C23
	v_mfma_i32_16x16x32_i8 v[140:143], a[156:157], v[252:253], v[140:143]// 000000004198: D3D7008C 0E33F99C
	v_mfma_i32_16x16x32_i8 v[140:143], a[158:159], v[254:255], v[140:143]// 0000000041A0: D3D7008C 0E33FD9E
	buffer_load_dword v33, s[20:23], 0 offen lds               // 0000000041A8: E0511000 80050021
	s_add_u32 m0, 0, s50                                       // 0000000041B0: 807C3280
	s_waitcnt vmcnt(36)                                        // 0000000041B4: BF8C8F74
	v_mfma_i32_16x16x32_i8 v[144:147], a[160:161], v[224:225], v[144:147]// 0000000041B8: D3D70090 0E43C1A0
	v_mfma_i32_16x16x32_i8 v[144:147], a[162:163], v[226:227], v[144:147]// 0000000041C0: D3D70090 0E43C5A2
	buffer_load_dwordx4 a[32:35], v36, s[24:27], 0 offen       // 0000000041C8: E05C1000 80862024
	v_mfma_i32_16x16x32_i8 v[144:147], a[164:165], v[228:229], v[144:147]// 0000000041D0: D3D70090 0E43C9A4
	v_mfma_i32_16x16x32_i8 v[144:147], a[166:167], v[230:231], v[144:147]// 0000000041D8: D3D70090 0E43CDA6
	ds_read_b128 v[192:195], v2                                // 0000000041E0: D9FE0000 C0000002
	v_mfma_i32_16x16x32_i8 v[144:147], a[168:169], v[232:233], v[144:147]// 0000000041E8: D3D70090 0E43D1A8
	v_mfma_i32_16x16x32_i8 v[144:147], a[170:171], v[234:235], v[144:147]// 0000000041F0: D3D70090 0E43D5AA
	buffer_load_dwordx4 a[36:39], v36, s[24:27], 0 offen offset:1024// 0000000041F8: E05C1400 80862424
	v_mfma_i32_16x16x32_i8 v[144:147], a[172:173], v[236:237], v[144:147]// 000000004200: D3D70090 0E43D9AC
	v_mfma_i32_16x16x32_i8 v[144:147], a[174:175], v[238:239], v[144:147]// 000000004208: D3D70090 0E43DDAE
	ds_read_b128 v[196:199], v2 offset:64                      // 000000004210: D9FE0040 C4000002
	v_mfma_i32_16x16x32_i8 v[148:151], a[160:161], v[240:241], v[148:151]// 000000004218: D3D70094 0E53E1A0
	v_mfma_i32_16x16x32_i8 v[148:151], a[162:163], v[242:243], v[148:151]// 000000004220: D3D70094 0E53E5A2
	buffer_load_dwordx4 a[40:43], v36, s[24:27], 0 offen offset:2048// 000000004228: E05C1800 80862824
	v_mfma_i32_16x16x32_i8 v[148:151], a[164:165], v[244:245], v[148:151]// 000000004230: D3D70094 0E53E9A4
	v_mfma_i32_16x16x32_i8 v[148:151], a[166:167], v[246:247], v[148:151]// 000000004238: D3D70094 0E53EDA6
	ds_read_b128 v[200:203], v2 offset:128                     // 000000004240: D9FE0080 C8000002
	v_mfma_i32_16x16x32_i8 v[148:151], a[168:169], v[248:249], v[148:151]// 000000004248: D3D70094 0E53F1A8
	v_mfma_i32_16x16x32_i8 v[148:151], a[170:171], v[250:251], v[148:151]// 000000004250: D3D70094 0E53F5AA
	buffer_load_dwordx4 a[44:47], v36, s[24:27], 0 offen offset:3072// 000000004258: E05C1C00 80862C24
	v_mfma_i32_16x16x32_i8 v[148:151], a[172:173], v[252:253], v[148:151]// 000000004260: D3D70094 0E53F9AC
	v_mfma_i32_16x16x32_i8 v[148:151], a[174:175], v[254:255], v[148:151]// 000000004268: D3D70094 0E53FDAE
	ds_read_b128 v[204:207], v2 offset:192                     // 000000004270: D9FE00C0 CC000002
	s_waitcnt vmcnt(36)                                        // 000000004278: BF8C8F74
	v_mfma_i32_16x16x32_i8 v[152:155], a[176:177], v[224:225], v[152:155]// 00000000427C: D3D70098 0E63C1B0
	v_mfma_i32_16x16x32_i8 v[152:155], a[178:179], v[226:227], v[152:155]// 000000004284: D3D70098 0E63C5B2
	buffer_load_dwordx4 a[48:51], v37, s[24:27], 0 offen       // 00000000428C: E05C1000 80863025
	v_mfma_i32_16x16x32_i8 v[152:155], a[180:181], v[228:229], v[152:155]// 000000004294: D3D70098 0E63C9B4
	v_mfma_i32_16x16x32_i8 v[152:155], a[182:183], v[230:231], v[152:155]// 00000000429C: D3D70098 0E63CDB6
	ds_read_b128 v[208:211], v2 offset:1024                    // 0000000042A4: D9FE0400 D0000002
	v_mfma_i32_16x16x32_i8 v[152:155], a[184:185], v[232:233], v[152:155]// 0000000042AC: D3D70098 0E63D1B8
	v_mfma_i32_16x16x32_i8 v[152:155], a[186:187], v[234:235], v[152:155]// 0000000042B4: D3D70098 0E63D5BA
	buffer_load_dwordx4 a[52:55], v37, s[24:27], 0 offen offset:1024// 0000000042BC: E05C1400 80863425
	v_mfma_i32_16x16x32_i8 v[152:155], a[188:189], v[236:237], v[152:155]// 0000000042C4: D3D70098 0E63D9BC
	v_mfma_i32_16x16x32_i8 v[152:155], a[190:191], v[238:239], v[152:155]// 0000000042CC: D3D70098 0E63DDBE
	ds_read_b128 v[212:215], v2 offset:1088                    // 0000000042D4: D9FE0440 D4000002
	v_mfma_i32_16x16x32_i8 v[156:159], a[176:177], v[240:241], v[156:159]// 0000000042DC: D3D7009C 0E73E1B0
	v_mfma_i32_16x16x32_i8 v[156:159], a[178:179], v[242:243], v[156:159]// 0000000042E4: D3D7009C 0E73E5B2
	buffer_load_dwordx4 a[56:59], v37, s[24:27], 0 offen offset:2048// 0000000042EC: E05C1800 80863825
	v_mfma_i32_16x16x32_i8 v[156:159], a[180:181], v[244:245], v[156:159]// 0000000042F4: D3D7009C 0E73E9B4
	v_mfma_i32_16x16x32_i8 v[156:159], a[182:183], v[246:247], v[156:159]// 0000000042FC: D3D7009C 0E73EDB6
	ds_read_b128 v[216:219], v2 offset:1152                    // 000000004304: D9FE0480 D8000002
	v_mfma_i32_16x16x32_i8 v[156:159], a[184:185], v[248:249], v[156:159]// 00000000430C: D3D7009C 0E73F1B8
	v_mfma_i32_16x16x32_i8 v[156:159], a[186:187], v[250:251], v[156:159]// 000000004314: D3D7009C 0E73F5BA
	buffer_load_dwordx4 a[60:63], v37, s[24:27], 0 offen offset:3072// 00000000431C: E05C1C00 80863C25
	v_mfma_i32_16x16x32_i8 v[156:159], a[188:189], v[252:253], v[156:159]// 000000004324: D3D7009C 0E73F9BC
	v_mfma_i32_16x16x32_i8 v[156:159], a[190:191], v[254:255], v[156:159]// 00000000432C: D3D7009C 0E73FDBE
	ds_read_b128 v[220:223], v2 offset:1216                    // 000000004334: D9FE04C0 DC000002
	s_waitcnt vmcnt(36)                                        // 00000000433C: BF8C8F74
	v_mfma_i32_16x16x32_i8 v[160:163], a[192:193], v[224:225], v[160:163]// 000000004340: D3D700A0 0E83C1C0
	v_mfma_i32_16x16x32_i8 v[160:163], a[194:195], v[226:227], v[160:163]// 000000004348: D3D700A0 0E83C5C2
	buffer_load_dwordx4 a[64:67], v38, s[24:27], 0 offen       // 000000004350: E05C1000 80864026
	v_mfma_i32_16x16x32_i8 v[160:163], a[196:197], v[228:229], v[160:163]// 000000004358: D3D700A0 0E83C9C4
	v_mfma_i32_16x16x32_i8 v[160:163], a[198:199], v[230:231], v[160:163]// 000000004360: D3D700A0 0E83CDC6
	v_mfma_i32_16x16x32_i8 v[160:163], a[200:201], v[232:233], v[160:163]// 000000004368: D3D700A0 0E83D1C8
	v_mfma_i32_16x16x32_i8 v[160:163], a[202:203], v[234:235], v[160:163]// 000000004370: D3D700A0 0E83D5CA
	buffer_load_dwordx4 a[68:71], v38, s[24:27], 0 offen offset:1024// 000000004378: E05C1400 80864426
	v_mfma_i32_16x16x32_i8 v[160:163], a[204:205], v[236:237], v[160:163]// 000000004380: D3D700A0 0E83D9CC
	v_mfma_i32_16x16x32_i8 v[160:163], a[206:207], v[238:239], v[160:163]// 000000004388: D3D700A0 0E83DDCE
	v_mfma_i32_16x16x32_i8 v[164:167], a[192:193], v[240:241], v[164:167]// 000000004390: D3D700A4 0E93E1C0
	v_mfma_i32_16x16x32_i8 v[164:167], a[194:195], v[242:243], v[164:167]// 000000004398: D3D700A4 0E93E5C2
	buffer_load_dwordx4 a[72:75], v38, s[24:27], 0 offen offset:2048// 0000000043A0: E05C1800 80864826
	v_mfma_i32_16x16x32_i8 v[164:167], a[196:197], v[244:245], v[164:167]// 0000000043A8: D3D700A4 0E93E9C4
	v_mfma_i32_16x16x32_i8 v[164:167], a[198:199], v[246:247], v[164:167]// 0000000043B0: D3D700A4 0E93EDC6
	v_mfma_i32_16x16x32_i8 v[164:167], a[200:201], v[248:249], v[164:167]// 0000000043B8: D3D700A4 0E93F1C8
	v_mfma_i32_16x16x32_i8 v[164:167], a[202:203], v[250:251], v[164:167]// 0000000043C0: D3D700A4 0E93F5CA
	buffer_load_dwordx4 a[76:79], v38, s[24:27], 0 offen offset:3072// 0000000043C8: E05C1C00 80864C26
	v_mfma_i32_16x16x32_i8 v[164:167], a[204:205], v[252:253], v[164:167]// 0000000043D0: D3D700A4 0E93F9CC
	v_mfma_i32_16x16x32_i8 v[164:167], a[206:207], v[254:255], v[164:167]// 0000000043D8: D3D700A4 0E93FDCE
	s_waitcnt vmcnt(36)                                        // 0000000043E0: BF8C8F74
	v_mfma_i32_16x16x32_i8 v[168:171], a[208:209], v[224:225], v[168:171]// 0000000043E4: D3D700A8 0EA3C1D0
	v_mfma_i32_16x16x32_i8 v[168:171], a[210:211], v[226:227], v[168:171]// 0000000043EC: D3D700A8 0EA3C5D2
	buffer_load_dwordx4 a[80:83], v39, s[24:27], 0 offen       // 0000000043F4: E05C1000 80865027
	v_mfma_i32_16x16x32_i8 v[168:171], a[212:213], v[228:229], v[168:171]// 0000000043FC: D3D700A8 0EA3C9D4
	v_mfma_i32_16x16x32_i8 v[168:171], a[214:215], v[230:231], v[168:171]// 000000004404: D3D700A8 0EA3CDD6
	v_mfma_i32_16x16x32_i8 v[168:171], a[216:217], v[232:233], v[168:171]// 00000000440C: D3D700A8 0EA3D1D8
	v_mfma_i32_16x16x32_i8 v[168:171], a[218:219], v[234:235], v[168:171]// 000000004414: D3D700A8 0EA3D5DA
	buffer_load_dwordx4 a[84:87], v39, s[24:27], 0 offen offset:1024// 00000000441C: E05C1400 80865427
	v_mfma_i32_16x16x32_i8 v[168:171], a[220:221], v[236:237], v[168:171]// 000000004424: D3D700A8 0EA3D9DC
	v_mfma_i32_16x16x32_i8 v[168:171], a[222:223], v[238:239], v[168:171]// 00000000442C: D3D700A8 0EA3DDDE
	v_mfma_i32_16x16x32_i8 v[172:175], a[208:209], v[240:241], v[172:175]// 000000004434: D3D700AC 0EB3E1D0
	v_mfma_i32_16x16x32_i8 v[172:175], a[210:211], v[242:243], v[172:175]// 00000000443C: D3D700AC 0EB3E5D2
	buffer_load_dwordx4 a[88:91], v39, s[24:27], 0 offen offset:2048// 000000004444: E05C1800 80865827
	v_mfma_i32_16x16x32_i8 v[172:175], a[212:213], v[244:245], v[172:175]// 00000000444C: D3D700AC 0EB3E9D4
	v_mfma_i32_16x16x32_i8 v[172:175], a[214:215], v[246:247], v[172:175]// 000000004454: D3D700AC 0EB3EDD6
	v_mfma_i32_16x16x32_i8 v[172:175], a[216:217], v[248:249], v[172:175]// 00000000445C: D3D700AC 0EB3F1D8
	v_mfma_i32_16x16x32_i8 v[172:175], a[218:219], v[250:251], v[172:175]// 000000004464: D3D700AC 0EB3F5DA
	buffer_load_dwordx4 a[92:95], v39, s[24:27], 0 offen offset:3072// 00000000446C: E05C1C00 80865C27
	v_mfma_i32_16x16x32_i8 v[172:175], a[220:221], v[252:253], v[172:175]// 000000004474: D3D700AC 0EB3F9DC
	v_mfma_i32_16x16x32_i8 v[172:175], a[222:223], v[254:255], v[172:175]// 00000000447C: D3D700AC 0EB3FDDE
	s_waitcnt vmcnt(36)                                        // 000000004484: BF8C8F74
	v_mfma_i32_16x16x32_i8 v[176:179], a[224:225], v[224:225], v[176:179]// 000000004488: D3D700B0 0EC3C1E0
	v_mfma_i32_16x16x32_i8 v[176:179], a[226:227], v[226:227], v[176:179]// 000000004490: D3D700B0 0EC3C5E2
	buffer_load_dwordx4 a[96:99], v40, s[24:27], 0 offen       // 000000004498: E05C1000 80866028
	v_mfma_i32_16x16x32_i8 v[176:179], a[228:229], v[228:229], v[176:179]// 0000000044A0: D3D700B0 0EC3C9E4
	v_mfma_i32_16x16x32_i8 v[176:179], a[230:231], v[230:231], v[176:179]// 0000000044A8: D3D700B0 0EC3CDE6
	v_mfma_i32_16x16x32_i8 v[176:179], a[232:233], v[232:233], v[176:179]// 0000000044B0: D3D700B0 0EC3D1E8
	v_mfma_i32_16x16x32_i8 v[176:179], a[234:235], v[234:235], v[176:179]// 0000000044B8: D3D700B0 0EC3D5EA
	buffer_load_dwordx4 a[100:103], v40, s[24:27], 0 offen offset:1024// 0000000044C0: E05C1400 80866428
	v_mfma_i32_16x16x32_i8 v[176:179], a[236:237], v[236:237], v[176:179]// 0000000044C8: D3D700B0 0EC3D9EC
	v_mfma_i32_16x16x32_i8 v[176:179], a[238:239], v[238:239], v[176:179]// 0000000044D0: D3D700B0 0EC3DDEE
	v_mfma_i32_16x16x32_i8 v[180:183], a[224:225], v[240:241], v[180:183]// 0000000044D8: D3D700B4 0ED3E1E0
	v_mfma_i32_16x16x32_i8 v[180:183], a[226:227], v[242:243], v[180:183]// 0000000044E0: D3D700B4 0ED3E5E2
	buffer_load_dwordx4 a[104:107], v40, s[24:27], 0 offen offset:2048// 0000000044E8: E05C1800 80866828
	v_mfma_i32_16x16x32_i8 v[180:183], a[228:229], v[244:245], v[180:183]// 0000000044F0: D3D700B4 0ED3E9E4
	v_mfma_i32_16x16x32_i8 v[180:183], a[230:231], v[246:247], v[180:183]// 0000000044F8: D3D700B4 0ED3EDE6
	v_mfma_i32_16x16x32_i8 v[180:183], a[232:233], v[248:249], v[180:183]// 000000004500: D3D700B4 0ED3F1E8
	v_mfma_i32_16x16x32_i8 v[180:183], a[234:235], v[250:251], v[180:183]// 000000004508: D3D700B4 0ED3F5EA
	buffer_load_dwordx4 a[108:111], v40, s[24:27], 0 offen offset:3072// 000000004510: E05C1C00 80866C28
	v_mfma_i32_16x16x32_i8 v[180:183], a[236:237], v[252:253], v[180:183]// 000000004518: D3D700B4 0ED3F9EC
	v_mfma_i32_16x16x32_i8 v[180:183], a[238:239], v[254:255], v[180:183]// 000000004520: D3D700B4 0ED3FDEE
	s_waitcnt vmcnt(36)                                        // 000000004528: BF8C8F74
	v_mfma_i32_16x16x32_i8 v[184:187], a[240:241], v[224:225], v[184:187]// 00000000452C: D3D700B8 0EE3C1F0
	v_mfma_i32_16x16x32_i8 v[184:187], a[242:243], v[226:227], v[184:187]// 000000004534: D3D700B8 0EE3C5F2
	buffer_load_dwordx4 a[112:115], v41, s[24:27], 0 offen     // 00000000453C: E05C1000 80867029
	v_mfma_i32_16x16x32_i8 v[184:187], a[244:245], v[228:229], v[184:187]// 000000004544: D3D700B8 0EE3C9F4
	v_mfma_i32_16x16x32_i8 v[184:187], a[246:247], v[230:231], v[184:187]// 00000000454C: D3D700B8 0EE3CDF6
	v_mfma_i32_16x16x32_i8 v[184:187], a[248:249], v[232:233], v[184:187]// 000000004554: D3D700B8 0EE3D1F8
	v_mfma_i32_16x16x32_i8 v[184:187], a[250:251], v[234:235], v[184:187]// 00000000455C: D3D700B8 0EE3D5FA
	buffer_load_dwordx4 a[116:119], v41, s[24:27], 0 offen offset:1024// 000000004564: E05C1400 80867429
	v_mfma_i32_16x16x32_i8 v[184:187], a[252:253], v[236:237], v[184:187]// 00000000456C: D3D700B8 0EE3D9FC
	v_mfma_i32_16x16x32_i8 v[184:187], a[254:255], v[238:239], v[184:187]// 000000004574: D3D700B8 0EE3DDFE
	v_mfma_i32_16x16x32_i8 v[188:191], a[240:241], v[240:241], v[188:191]// 00000000457C: D3D700BC 0EF3E1F0
	v_mfma_i32_16x16x32_i8 v[188:191], a[242:243], v[242:243], v[188:191]// 000000004584: D3D700BC 0EF3E5F2
	buffer_load_dwordx4 a[120:123], v41, s[24:27], 0 offen offset:2048// 00000000458C: E05C1800 80867829
	v_mfma_i32_16x16x32_i8 v[188:191], a[244:245], v[244:245], v[188:191]// 000000004594: D3D700BC 0EF3E9F4
	v_mfma_i32_16x16x32_i8 v[188:191], a[246:247], v[246:247], v[188:191]// 00000000459C: D3D700BC 0EF3EDF6
	v_mfma_i32_16x16x32_i8 v[188:191], a[248:249], v[248:249], v[188:191]// 0000000045A4: D3D700BC 0EF3F1F8
	v_mfma_i32_16x16x32_i8 v[188:191], a[250:251], v[250:251], v[188:191]// 0000000045AC: D3D700BC 0EF3F5FA
	buffer_load_dwordx4 a[124:127], v41, s[24:27], 0 offen offset:3072// 0000000045B4: E05C1C00 80867C29
	v_mfma_i32_16x16x32_i8 v[188:191], a[252:253], v[252:253], v[188:191]// 0000000045BC: D3D700BC 0EF3F9FC
	v_mfma_i32_16x16x32_i8 v[188:191], a[254:255], v[254:255], v[188:191]// 0000000045C4: D3D700BC 0EF3FDFE
	s_add_u32 s60, 0x300, s80                                  // 0000000045CC: 803C50FF 00000300
	s_cmp_lt_u32 s60, s81                                      // 0000000045D4: BF0A513C
	s_cselect_b32 s57, s57, 0                                  // 0000000045D8: 85398039
	s_add_u32 s60, 0x200, s80                                  // 0000000045DC: 803C50FF 00000200
	s_cmp_lt_u32 s60, s81                                      // 0000000045E4: BF0A513C
	s_cselect_b32 s58, s58, 0                                  // 0000000045E8: 853A803A
	s_add_u32 s20, s57, s20                                    // 0000000045EC: 80141439
	s_addc_u32 s21, 0, s21                                     // 0000000045F0: 82151580
	s_add_u32 s24, s58, s24                                    // 0000000045F4: 8018183A
	s_addc_u32 s25, 0, s25                                     // 0000000045F8: 82191980
	s_addk_i32 s80, 0x100                                      // 0000000045FC: B7500100
	s_cmp_lt_i32 s80, s81                                      // 000000004600: BF045150
	s_cbranch_scc0 label_0603                                  // 000000004604: BF840001
	s_branch label_02F6                                        // 000000004608: BF82FCF3

000000000000460c <label_0603>:
	s_mov_b32 s36, -1                                          // 00000000460C: BEA400C1
	s_mov_b32 s37, -1                                          // 000000004610: BEA500C1
	s_mov_b64 s[60:61], 0                                      // 000000004614: BEBC0180
	s_cmp_lt_u32 s82, s66                                      // 000000004618: BF0A4252
	s_cselect_b64 s[20:21], s[36:37], s[60:61]                 // 00000000461C: 85943C24
	s_cmp_lt_u32 s83, s66                                      // 000000004620: BF0A4253
	s_cselect_b64 s[22:23], s[36:37], s[60:61]                 // 000000004624: 85963C24
	s_cmp_lt_u32 s84, s66                                      // 000000004628: BF0A4254
	s_cselect_b64 s[24:25], s[36:37], s[60:61]                 // 00000000462C: 85983C24
	s_cmp_lt_u32 s85, s66                                      // 000000004630: BF0A4255
	s_cselect_b64 s[26:27], s[36:37], s[60:61]                 // 000000004634: 859A3C24
	s_cmp_lt_u32 s86, s66                                      // 000000004638: BF0A4256
	s_cselect_b64 s[28:29], s[36:37], s[60:61]                 // 00000000463C: 859C3C24
	s_cmp_lt_u32 s87, s66                                      // 000000004640: BF0A4257
	s_cselect_b64 s[30:31], s[36:37], s[60:61]                 // 000000004644: 859E3C24
	s_cmp_lt_u32 s88, s66                                      // 000000004648: BF0A4258
	s_cselect_b64 s[32:33], s[36:37], s[60:61]                 // 00000000464C: 85A03C24
	s_cmp_lt_u32 s89, s66                                      // 000000004650: BF0A4259
	s_cselect_b64 s[34:35], s[36:37], s[60:61]                 // 000000004654: 85A23C24
	v_cvt_f32_i32_e32 v128, v128                               // 000000004658: 7F000B80
	v_cvt_f32_i32_e32 v129, v129                               // 00000000465C: 7F020B81
	v_cvt_f32_i32_e32 v130, v130                               // 000000004660: 7F040B82
	v_cvt_f32_i32_e32 v131, v131                               // 000000004664: 7F060B83
	v_mul_f32_e32 v128, v14, v128                              // 000000004668: 0B01010E
	v_mul_f32_e32 v129, v14, v129                              // 00000000466C: 0B03030E
	v_mul_f32_e32 v130, v14, v130                              // 000000004670: 0B05050E
	v_mul_f32_e32 v131, v14, v131                              // 000000004674: 0B07070E
	v_mul_f32_dpp v128, v16, v128 row_newbcast:0 row_mask:0xf bank_mask:0xf// 000000004678: 0B0100FA FF015010
	v_mul_f32_dpp v129, v16, v129 row_newbcast:1 row_mask:0xf bank_mask:0xf// 000000004680: 0B0302FA FF015110
	v_mul_f32_dpp v130, v16, v130 row_newbcast:2 row_mask:0xf bank_mask:0xf// 000000004688: 0B0504FA FF015210
	v_mul_f32_dpp v131, v16, v131 row_newbcast:3 row_mask:0xf bank_mask:0xf// 000000004690: 0B0706FA FF015310
	v_cvt_f32_i32_e32 v132, v132                               // 000000004698: 7F080B84
	v_cvt_f32_i32_e32 v133, v133                               // 00000000469C: 7F0A0B85
	v_cvt_f32_i32_e32 v134, v134                               // 0000000046A0: 7F0C0B86
	v_cvt_f32_i32_e32 v135, v135                               // 0000000046A4: 7F0E0B87
	v_mul_f32_e32 v132, v15, v132                              // 0000000046A8: 0B09090F
	v_mul_f32_e32 v133, v15, v133                              // 0000000046AC: 0B0B0B0F
	v_mul_f32_e32 v134, v15, v134                              // 0000000046B0: 0B0D0D0F
	v_mul_f32_e32 v135, v15, v135                              // 0000000046B4: 0B0F0F0F
	v_mul_f32_dpp v132, v16, v132 row_newbcast:0 row_mask:0xf bank_mask:0xf// 0000000046B8: 0B0908FA FF015010
	v_mul_f32_dpp v133, v16, v133 row_newbcast:1 row_mask:0xf bank_mask:0xf// 0000000046C0: 0B0B0AFA FF015110
	v_mul_f32_dpp v134, v16, v134 row_newbcast:2 row_mask:0xf bank_mask:0xf// 0000000046C8: 0B0D0CFA FF015210
	v_mul_f32_dpp v135, v16, v135 row_newbcast:3 row_mask:0xf bank_mask:0xf// 0000000046D0: 0B0F0EFA FF015310
	v_cvt_f32_i32_e32 v136, v136                               // 0000000046D8: 7F100B88
	v_cvt_f32_i32_e32 v137, v137                               // 0000000046DC: 7F120B89
	v_cvt_f32_i32_e32 v138, v138                               // 0000000046E0: 7F140B8A
	v_cvt_f32_i32_e32 v139, v139                               // 0000000046E4: 7F160B8B
	v_mul_f32_e32 v136, v14, v136                              // 0000000046E8: 0B11110E
	v_mul_f32_e32 v137, v14, v137                              // 0000000046EC: 0B13130E
	v_mul_f32_e32 v138, v14, v138                              // 0000000046F0: 0B15150E
	v_mul_f32_e32 v139, v14, v139                              // 0000000046F4: 0B17170E
	v_mul_f32_dpp v136, v16, v136 row_newbcast:4 row_mask:0xf bank_mask:0xf// 0000000046F8: 0B1110FA FF015410
	v_mul_f32_dpp v137, v16, v137 row_newbcast:5 row_mask:0xf bank_mask:0xf// 000000004700: 0B1312FA FF015510
	v_mul_f32_dpp v138, v16, v138 row_newbcast:6 row_mask:0xf bank_mask:0xf// 000000004708: 0B1514FA FF015610
	v_mul_f32_dpp v139, v16, v139 row_newbcast:7 row_mask:0xf bank_mask:0xf// 000000004710: 0B1716FA FF015710
	v_cvt_f32_i32_e32 v140, v140                               // 000000004718: 7F180B8C
	v_cvt_f32_i32_e32 v141, v141                               // 00000000471C: 7F1A0B8D
	v_cvt_f32_i32_e32 v142, v142                               // 000000004720: 7F1C0B8E
	v_cvt_f32_i32_e32 v143, v143                               // 000000004724: 7F1E0B8F
	v_mul_f32_e32 v140, v15, v140                              // 000000004728: 0B19190F
	v_mul_f32_e32 v141, v15, v141                              // 00000000472C: 0B1B1B0F
	v_mul_f32_e32 v142, v15, v142                              // 000000004730: 0B1D1D0F
	v_mul_f32_e32 v143, v15, v143                              // 000000004734: 0B1F1F0F
	v_mul_f32_dpp v140, v16, v140 row_newbcast:4 row_mask:0xf bank_mask:0xf// 000000004738: 0B1918FA FF015410
	v_mul_f32_dpp v141, v16, v141 row_newbcast:5 row_mask:0xf bank_mask:0xf// 000000004740: 0B1B1AFA FF015510
	v_mul_f32_dpp v142, v16, v142 row_newbcast:6 row_mask:0xf bank_mask:0xf// 000000004748: 0B1D1CFA FF015610
	v_mul_f32_dpp v143, v16, v143 row_newbcast:7 row_mask:0xf bank_mask:0xf// 000000004750: 0B1F1EFA FF015710
	v_cvt_f32_i32_e32 v144, v144                               // 000000004758: 7F200B90
	v_cvt_f32_i32_e32 v145, v145                               // 00000000475C: 7F220B91
	v_cvt_f32_i32_e32 v146, v146                               // 000000004760: 7F240B92
	v_cvt_f32_i32_e32 v147, v147                               // 000000004764: 7F260B93
	v_mul_f32_e32 v144, v14, v144                              // 000000004768: 0B21210E
	v_mul_f32_e32 v145, v14, v145                              // 00000000476C: 0B23230E
	v_mul_f32_e32 v146, v14, v146                              // 000000004770: 0B25250E
	v_mul_f32_e32 v147, v14, v147                              // 000000004774: 0B27270E
	v_mul_f32_dpp v144, v16, v144 row_newbcast:8 row_mask:0xf bank_mask:0xf// 000000004778: 0B2120FA FF015810
	v_mul_f32_dpp v145, v16, v145 row_newbcast:9 row_mask:0xf bank_mask:0xf// 000000004780: 0B2322FA FF015910
	v_mul_f32_dpp v146, v16, v146 row_newbcast:10 row_mask:0xf bank_mask:0xf// 000000004788: 0B2524FA FF015A10
	v_mul_f32_dpp v147, v16, v147 row_newbcast:11 row_mask:0xf bank_mask:0xf// 000000004790: 0B2726FA FF015B10
	v_cvt_f32_i32_e32 v148, v148                               // 000000004798: 7F280B94
	v_cvt_f32_i32_e32 v149, v149                               // 00000000479C: 7F2A0B95
	v_cvt_f32_i32_e32 v150, v150                               // 0000000047A0: 7F2C0B96
	v_cvt_f32_i32_e32 v151, v151                               // 0000000047A4: 7F2E0B97
	v_mul_f32_e32 v148, v15, v148                              // 0000000047A8: 0B29290F
	v_mul_f32_e32 v149, v15, v149                              // 0000000047AC: 0B2B2B0F
	v_mul_f32_e32 v150, v15, v150                              // 0000000047B0: 0B2D2D0F
	v_mul_f32_e32 v151, v15, v151                              // 0000000047B4: 0B2F2F0F
	v_mul_f32_dpp v148, v16, v148 row_newbcast:8 row_mask:0xf bank_mask:0xf// 0000000047B8: 0B2928FA FF015810
	v_mul_f32_dpp v149, v16, v149 row_newbcast:9 row_mask:0xf bank_mask:0xf// 0000000047C0: 0B2B2AFA FF015910
	v_mul_f32_dpp v150, v16, v150 row_newbcast:10 row_mask:0xf bank_mask:0xf// 0000000047C8: 0B2D2CFA FF015A10
	v_mul_f32_dpp v151, v16, v151 row_newbcast:11 row_mask:0xf bank_mask:0xf// 0000000047D0: 0B2F2EFA FF015B10
	v_cvt_f32_i32_e32 v152, v152                               // 0000000047D8: 7F300B98
	v_cvt_f32_i32_e32 v153, v153                               // 0000000047DC: 7F320B99
	v_cvt_f32_i32_e32 v154, v154                               // 0000000047E0: 7F340B9A
	v_cvt_f32_i32_e32 v155, v155                               // 0000000047E4: 7F360B9B
	v_mul_f32_e32 v152, v14, v152                              // 0000000047E8: 0B31310E
	v_mul_f32_e32 v153, v14, v153                              // 0000000047EC: 0B33330E
	v_mul_f32_e32 v154, v14, v154                              // 0000000047F0: 0B35350E
	v_mul_f32_e32 v155, v14, v155                              // 0000000047F4: 0B37370E
	v_mul_f32_dpp v152, v16, v152 row_newbcast:12 row_mask:0xf bank_mask:0xf// 0000000047F8: 0B3130FA FF015C10
	v_mul_f32_dpp v153, v16, v153 row_newbcast:13 row_mask:0xf bank_mask:0xf// 000000004800: 0B3332FA FF015D10
	v_mul_f32_dpp v154, v16, v154 row_newbcast:14 row_mask:0xf bank_mask:0xf// 000000004808: 0B3534FA FF015E10
	v_mul_f32_dpp v155, v16, v155 row_newbcast:15 row_mask:0xf bank_mask:0xf// 000000004810: 0B3736FA FF015F10
	v_cvt_f32_i32_e32 v156, v156                               // 000000004818: 7F380B9C
	v_cvt_f32_i32_e32 v157, v157                               // 00000000481C: 7F3A0B9D
	v_cvt_f32_i32_e32 v158, v158                               // 000000004820: 7F3C0B9E
	v_cvt_f32_i32_e32 v159, v159                               // 000000004824: 7F3E0B9F
	v_mul_f32_e32 v156, v15, v156                              // 000000004828: 0B39390F
	v_mul_f32_e32 v157, v15, v157                              // 00000000482C: 0B3B3B0F
	v_mul_f32_e32 v158, v15, v158                              // 000000004830: 0B3D3D0F
	v_mul_f32_e32 v159, v15, v159                              // 000000004834: 0B3F3F0F
	v_mul_f32_dpp v156, v16, v156 row_newbcast:12 row_mask:0xf bank_mask:0xf// 000000004838: 0B3938FA FF015C10
	v_mul_f32_dpp v157, v16, v157 row_newbcast:13 row_mask:0xf bank_mask:0xf// 000000004840: 0B3B3AFA FF015D10
	v_mul_f32_dpp v158, v16, v158 row_newbcast:14 row_mask:0xf bank_mask:0xf// 000000004848: 0B3D3CFA FF015E10
	v_mul_f32_dpp v159, v16, v159 row_newbcast:15 row_mask:0xf bank_mask:0xf// 000000004850: 0B3F3EFA FF015F10
	v_cvt_f32_i32_e32 v160, v160                               // 000000004858: 7F400BA0
	v_cvt_f32_i32_e32 v161, v161                               // 00000000485C: 7F420BA1
	v_cvt_f32_i32_e32 v162, v162                               // 000000004860: 7F440BA2
	v_cvt_f32_i32_e32 v163, v163                               // 000000004864: 7F460BA3
	v_mul_f32_e32 v160, v14, v160                              // 000000004868: 0B41410E
	v_mul_f32_e32 v161, v14, v161                              // 00000000486C: 0B43430E
	v_mul_f32_e32 v162, v14, v162                              // 000000004870: 0B45450E
	v_mul_f32_e32 v163, v14, v163                              // 000000004874: 0B47470E
	v_mul_f32_dpp v160, v17, v160 row_newbcast:0 row_mask:0xf bank_mask:0xf// 000000004878: 0B4140FA FF015011
	v_mul_f32_dpp v161, v17, v161 row_newbcast:1 row_mask:0xf bank_mask:0xf// 000000004880: 0B4342FA FF015111
	v_mul_f32_dpp v162, v17, v162 row_newbcast:2 row_mask:0xf bank_mask:0xf// 000000004888: 0B4544FA FF015211
	v_mul_f32_dpp v163, v17, v163 row_newbcast:3 row_mask:0xf bank_mask:0xf// 000000004890: 0B4746FA FF015311
	v_cvt_f32_i32_e32 v164, v164                               // 000000004898: 7F480BA4
	v_cvt_f32_i32_e32 v165, v165                               // 00000000489C: 7F4A0BA5
	v_cvt_f32_i32_e32 v166, v166                               // 0000000048A0: 7F4C0BA6
	v_cvt_f32_i32_e32 v167, v167                               // 0000000048A4: 7F4E0BA7
	v_mul_f32_e32 v164, v15, v164                              // 0000000048A8: 0B49490F
	v_mul_f32_e32 v165, v15, v165                              // 0000000048AC: 0B4B4B0F
	v_mul_f32_e32 v166, v15, v166                              // 0000000048B0: 0B4D4D0F
	v_mul_f32_e32 v167, v15, v167                              // 0000000048B4: 0B4F4F0F
	v_mul_f32_dpp v164, v17, v164 row_newbcast:0 row_mask:0xf bank_mask:0xf// 0000000048B8: 0B4948FA FF015011
	v_mul_f32_dpp v165, v17, v165 row_newbcast:1 row_mask:0xf bank_mask:0xf// 0000000048C0: 0B4B4AFA FF015111
	v_mul_f32_dpp v166, v17, v166 row_newbcast:2 row_mask:0xf bank_mask:0xf// 0000000048C8: 0B4D4CFA FF015211
	v_mul_f32_dpp v167, v17, v167 row_newbcast:3 row_mask:0xf bank_mask:0xf// 0000000048D0: 0B4F4EFA FF015311
	v_cvt_f32_i32_e32 v168, v168                               // 0000000048D8: 7F500BA8
	v_cvt_f32_i32_e32 v169, v169                               // 0000000048DC: 7F520BA9
	v_cvt_f32_i32_e32 v170, v170                               // 0000000048E0: 7F540BAA
	v_cvt_f32_i32_e32 v171, v171                               // 0000000048E4: 7F560BAB
	v_mul_f32_e32 v168, v14, v168                              // 0000000048E8: 0B51510E
	v_mul_f32_e32 v169, v14, v169                              // 0000000048EC: 0B53530E
	v_mul_f32_e32 v170, v14, v170                              // 0000000048F0: 0B55550E
	v_mul_f32_e32 v171, v14, v171                              // 0000000048F4: 0B57570E
	v_mul_f32_dpp v168, v17, v168 row_newbcast:4 row_mask:0xf bank_mask:0xf// 0000000048F8: 0B5150FA FF015411
	v_mul_f32_dpp v169, v17, v169 row_newbcast:5 row_mask:0xf bank_mask:0xf// 000000004900: 0B5352FA FF015511
	v_mul_f32_dpp v170, v17, v170 row_newbcast:6 row_mask:0xf bank_mask:0xf// 000000004908: 0B5554FA FF015611
	v_mul_f32_dpp v171, v17, v171 row_newbcast:7 row_mask:0xf bank_mask:0xf// 000000004910: 0B5756FA FF015711
	v_cvt_f32_i32_e32 v172, v172                               // 000000004918: 7F580BAC
	v_cvt_f32_i32_e32 v173, v173                               // 00000000491C: 7F5A0BAD
	v_cvt_f32_i32_e32 v174, v174                               // 000000004920: 7F5C0BAE
	v_cvt_f32_i32_e32 v175, v175                               // 000000004924: 7F5E0BAF
	v_mul_f32_e32 v172, v15, v172                              // 000000004928: 0B59590F
	v_mul_f32_e32 v173, v15, v173                              // 00000000492C: 0B5B5B0F
	v_mul_f32_e32 v174, v15, v174                              // 000000004930: 0B5D5D0F
	v_mul_f32_e32 v175, v15, v175                              // 000000004934: 0B5F5F0F
	v_mul_f32_dpp v172, v17, v172 row_newbcast:4 row_mask:0xf bank_mask:0xf// 000000004938: 0B5958FA FF015411
	v_mul_f32_dpp v173, v17, v173 row_newbcast:5 row_mask:0xf bank_mask:0xf// 000000004940: 0B5B5AFA FF015511
	v_mul_f32_dpp v174, v17, v174 row_newbcast:6 row_mask:0xf bank_mask:0xf// 000000004948: 0B5D5CFA FF015611
	v_mul_f32_dpp v175, v17, v175 row_newbcast:7 row_mask:0xf bank_mask:0xf// 000000004950: 0B5F5EFA FF015711
	v_cvt_f32_i32_e32 v176, v176                               // 000000004958: 7F600BB0
	v_cvt_f32_i32_e32 v177, v177                               // 00000000495C: 7F620BB1
	v_cvt_f32_i32_e32 v178, v178                               // 000000004960: 7F640BB2
	v_cvt_f32_i32_e32 v179, v179                               // 000000004964: 7F660BB3
	v_mul_f32_e32 v176, v14, v176                              // 000000004968: 0B61610E
	v_mul_f32_e32 v177, v14, v177                              // 00000000496C: 0B63630E
	v_mul_f32_e32 v178, v14, v178                              // 000000004970: 0B65650E
	v_mul_f32_e32 v179, v14, v179                              // 000000004974: 0B67670E
	v_mul_f32_dpp v176, v17, v176 row_newbcast:8 row_mask:0xf bank_mask:0xf// 000000004978: 0B6160FA FF015811
	v_mul_f32_dpp v177, v17, v177 row_newbcast:9 row_mask:0xf bank_mask:0xf// 000000004980: 0B6362FA FF015911
	v_mul_f32_dpp v178, v17, v178 row_newbcast:10 row_mask:0xf bank_mask:0xf// 000000004988: 0B6564FA FF015A11
	v_mul_f32_dpp v179, v17, v179 row_newbcast:11 row_mask:0xf bank_mask:0xf// 000000004990: 0B6766FA FF015B11
	v_cvt_f32_i32_e32 v180, v180                               // 000000004998: 7F680BB4
	v_cvt_f32_i32_e32 v181, v181                               // 00000000499C: 7F6A0BB5
	v_cvt_f32_i32_e32 v182, v182                               // 0000000049A0: 7F6C0BB6
	v_cvt_f32_i32_e32 v183, v183                               // 0000000049A4: 7F6E0BB7
	v_mul_f32_e32 v180, v15, v180                              // 0000000049A8: 0B69690F
	v_mul_f32_e32 v181, v15, v181                              // 0000000049AC: 0B6B6B0F
	v_mul_f32_e32 v182, v15, v182                              // 0000000049B0: 0B6D6D0F
	v_mul_f32_e32 v183, v15, v183                              // 0000000049B4: 0B6F6F0F
	v_mul_f32_dpp v180, v17, v180 row_newbcast:8 row_mask:0xf bank_mask:0xf// 0000000049B8: 0B6968FA FF015811
	v_mul_f32_dpp v181, v17, v181 row_newbcast:9 row_mask:0xf bank_mask:0xf// 0000000049C0: 0B6B6AFA FF015911
	v_mul_f32_dpp v182, v17, v182 row_newbcast:10 row_mask:0xf bank_mask:0xf// 0000000049C8: 0B6D6CFA FF015A11
	v_mul_f32_dpp v183, v17, v183 row_newbcast:11 row_mask:0xf bank_mask:0xf// 0000000049D0: 0B6F6EFA FF015B11
	v_cvt_f32_i32_e32 v184, v184                               // 0000000049D8: 7F700BB8
	v_cvt_f32_i32_e32 v185, v185                               // 0000000049DC: 7F720BB9
	v_cvt_f32_i32_e32 v186, v186                               // 0000000049E0: 7F740BBA
	v_cvt_f32_i32_e32 v187, v187                               // 0000000049E4: 7F760BBB
	v_mul_f32_e32 v184, v14, v184                              // 0000000049E8: 0B71710E
	v_mul_f32_e32 v185, v14, v185                              // 0000000049EC: 0B73730E
	v_mul_f32_e32 v186, v14, v186                              // 0000000049F0: 0B75750E
	v_mul_f32_e32 v187, v14, v187                              // 0000000049F4: 0B77770E
	v_mul_f32_dpp v184, v17, v184 row_newbcast:12 row_mask:0xf bank_mask:0xf// 0000000049F8: 0B7170FA FF015C11
	v_mul_f32_dpp v185, v17, v185 row_newbcast:13 row_mask:0xf bank_mask:0xf// 000000004A00: 0B7372FA FF015D11
	v_mul_f32_dpp v186, v17, v186 row_newbcast:14 row_mask:0xf bank_mask:0xf// 000000004A08: 0B7574FA FF015E11
	v_mul_f32_dpp v187, v17, v187 row_newbcast:15 row_mask:0xf bank_mask:0xf// 000000004A10: 0B7776FA FF015F11
	v_cvt_f32_i32_e32 v188, v188                               // 000000004A18: 7F780BBC
	v_cvt_f32_i32_e32 v189, v189                               // 000000004A1C: 7F7A0BBD
	v_cvt_f32_i32_e32 v190, v190                               // 000000004A20: 7F7C0BBE
	v_cvt_f32_i32_e32 v191, v191                               // 000000004A24: 7F7E0BBF
	v_mul_f32_e32 v188, v15, v188                              // 000000004A28: 0B79790F
	v_mul_f32_e32 v189, v15, v189                              // 000000004A2C: 0B7B7B0F
	v_mul_f32_e32 v190, v15, v190                              // 000000004A30: 0B7D7D0F
	v_mul_f32_e32 v191, v15, v191                              // 000000004A34: 0B7F7F0F
	v_mul_f32_dpp v188, v17, v188 row_newbcast:12 row_mask:0xf bank_mask:0xf// 000000004A38: 0B7978FA FF015C11
	v_mul_f32_dpp v189, v17, v189 row_newbcast:13 row_mask:0xf bank_mask:0xf// 000000004A40: 0B7B7AFA FF015D11
	v_mul_f32_dpp v190, v17, v190 row_newbcast:14 row_mask:0xf bank_mask:0xf// 000000004A48: 0B7D7CFA FF015E11
	v_mul_f32_dpp v191, v17, v191 row_newbcast:15 row_mask:0xf bank_mask:0xf// 000000004A50: 0B7F7EFA FF015F11
	s_waitcnt vmcnt(28)                                        // 000000004A58: BF8C4F7C
	buffer_load_dwordx4 a[0:3], v42, s[12:15], 0 offen         // 000000004A5C: E05C1000 8083002A
	v_mul_f32_e64 v50, -v128, s6                               // 000000004A64: D1050032 20000D80
	v_mul_f32_e64 v51, -v129, s6                               // 000000004A6C: D1050033 20000D81
	v_mul_f32_e64 v52, -v130, s6                               // 000000004A74: D1050034 20000D82
	v_mul_f32_e64 v53, -v131, s6                               // 000000004A7C: D1050035 20000D83
	v_exp_f32_e32 v50, v50                                     // 000000004A84: 7E644132
	v_exp_f32_e32 v51, v51                                     // 000000004A88: 7E664133
	v_exp_f32_e32 v52, v52                                     // 000000004A8C: 7E684134
	v_exp_f32_e32 v53, v53                                     // 000000004A90: 7E6A4135
	buffer_load_dwordx4 a[4:7], v43, s[12:15], 0 offen         // 000000004A94: E05C1000 8083042B
	v_add_f32_e64 v50, v50, 1.0                                // 000000004A9C: D1010032 0001E532
	v_add_f32_e64 v51, v51, 1.0                                // 000000004AA4: D1010033 0001E533
	v_add_f32_e64 v52, v52, 1.0                                // 000000004AAC: D1010034 0001E534
	v_add_f32_e64 v53, v53, 1.0                                // 000000004AB4: D1010035 0001E535
	v_rcp_f32_e32 v50, v50                                     // 000000004ABC: 7E644532
	v_rcp_f32_e32 v51, v51                                     // 000000004AC0: 7E664533
	v_rcp_f32_e32 v52, v52                                     // 000000004AC4: 7E684534
	v_rcp_f32_e32 v53, v53                                     // 000000004AC8: 7E6A4535
	v_mul_f32_e32 v128, v128, v50                              // 000000004ACC: 0B006580
	v_mul_f32_e32 v129, v129, v51                              // 000000004AD0: 0B026781
	v_mul_f32_e32 v130, v130, v52                              // 000000004AD4: 0B046982
	v_mul_f32_e32 v131, v131, v53                              // 000000004AD8: 0B066B83
	buffer_load_dwordx4 a[8:11], v44, s[12:15], 0 offen        // 000000004ADC: E05C1000 8083082C
	v_mul_f32_e64 v50, -v132, s6                               // 000000004AE4: D1050032 20000D84
	v_mul_f32_e64 v51, -v133, s6                               // 000000004AEC: D1050033 20000D85
	v_mul_f32_e64 v52, -v134, s6                               // 000000004AF4: D1050034 20000D86
	v_mul_f32_e64 v53, -v135, s6                               // 000000004AFC: D1050035 20000D87
	v_exp_f32_e32 v50, v50                                     // 000000004B04: 7E644132
	v_exp_f32_e32 v51, v51                                     // 000000004B08: 7E664133
	v_exp_f32_e32 v52, v52                                     // 000000004B0C: 7E684134
	v_exp_f32_e32 v53, v53                                     // 000000004B10: 7E6A4135
	buffer_load_dwordx4 a[12:15], v45, s[12:15], 0 offen       // 000000004B14: E05C1000 80830C2D
	s_add_u32 s12, s78, s12                                    // 000000004B1C: 800C0C4E
	s_addc_u32 s13, 0, s13                                     // 000000004B20: 820D0D80
	v_add_f32_e64 v50, v50, 1.0                                // 000000004B24: D1010032 0001E532
	v_add_f32_e64 v51, v51, 1.0                                // 000000004B2C: D1010033 0001E533
	v_add_f32_e64 v52, v52, 1.0                                // 000000004B34: D1010034 0001E534
	v_add_f32_e64 v53, v53, 1.0                                // 000000004B3C: D1010035 0001E535
	v_rcp_f32_e32 v50, v50                                     // 000000004B44: 7E644532
	v_rcp_f32_e32 v51, v51                                     // 000000004B48: 7E664533
	v_rcp_f32_e32 v52, v52                                     // 000000004B4C: 7E684534
	v_rcp_f32_e32 v53, v53                                     // 000000004B50: 7E6A4535
	v_mul_f32_e32 v132, v132, v50                              // 000000004B54: 0B086584
	v_mul_f32_e32 v133, v133, v51                              // 000000004B58: 0B0A6785
	v_mul_f32_e32 v134, v134, v52                              // 000000004B5C: 0B0C6986
	v_mul_f32_e32 v135, v135, v53                              // 000000004B60: 0B0E6B87
	s_waitcnt vmcnt(28)                                        // 000000004B64: BF8C4F7C
	buffer_load_dwordx4 a[16:19], v42, s[12:15], 0 offen       // 000000004B68: E05C1000 8083102A
	v_mul_f32_e64 v50, -v136, s6                               // 000000004B70: D1050032 20000D88
	v_mul_f32_e64 v51, -v137, s6                               // 000000004B78: D1050033 20000D89
	v_mul_f32_e64 v52, -v138, s6                               // 000000004B80: D1050034 20000D8A
	v_mul_f32_e64 v53, -v139, s6                               // 000000004B88: D1050035 20000D8B
	v_exp_f32_e32 v50, v50                                     // 000000004B90: 7E644132
	v_exp_f32_e32 v51, v51                                     // 000000004B94: 7E664133
	v_exp_f32_e32 v52, v52                                     // 000000004B98: 7E684134
	v_exp_f32_e32 v53, v53                                     // 000000004B9C: 7E6A4135
	buffer_load_dwordx4 a[20:23], v43, s[12:15], 0 offen       // 000000004BA0: E05C1000 8083142B
	v_add_f32_e64 v50, v50, 1.0                                // 000000004BA8: D1010032 0001E532
	v_add_f32_e64 v51, v51, 1.0                                // 000000004BB0: D1010033 0001E533
	v_add_f32_e64 v52, v52, 1.0                                // 000000004BB8: D1010034 0001E534
	v_add_f32_e64 v53, v53, 1.0                                // 000000004BC0: D1010035 0001E535
	v_rcp_f32_e32 v50, v50                                     // 000000004BC8: 7E644532
	v_rcp_f32_e32 v51, v51                                     // 000000004BCC: 7E664533
	v_rcp_f32_e32 v52, v52                                     // 000000004BD0: 7E684534
	v_rcp_f32_e32 v53, v53                                     // 000000004BD4: 7E6A4535
	v_mul_f32_e32 v136, v136, v50                              // 000000004BD8: 0B106588
	v_mul_f32_e32 v137, v137, v51                              // 000000004BDC: 0B126789
	v_mul_f32_e32 v138, v138, v52                              // 000000004BE0: 0B14698A
	v_mul_f32_e32 v139, v139, v53                              // 000000004BE4: 0B166B8B
	buffer_load_dwordx4 a[24:27], v44, s[12:15], 0 offen       // 000000004BE8: E05C1000 8083182C
	v_mul_f32_e64 v50, -v140, s6                               // 000000004BF0: D1050032 20000D8C
	v_mul_f32_e64 v51, -v141, s6                               // 000000004BF8: D1050033 20000D8D
	v_mul_f32_e64 v52, -v142, s6                               // 000000004C00: D1050034 20000D8E
	v_mul_f32_e64 v53, -v143, s6                               // 000000004C08: D1050035 20000D8F
	v_exp_f32_e32 v50, v50                                     // 000000004C10: 7E644132
	v_exp_f32_e32 v51, v51                                     // 000000004C14: 7E664133
	v_exp_f32_e32 v52, v52                                     // 000000004C18: 7E684134
	v_exp_f32_e32 v53, v53                                     // 000000004C1C: 7E6A4135
	buffer_load_dwordx4 a[28:31], v45, s[12:15], 0 offen       // 000000004C20: E05C1000 80831C2D
	s_add_u32 s12, s78, s12                                    // 000000004C28: 800C0C4E
	s_addc_u32 s13, 0, s13                                     // 000000004C2C: 820D0D80
	v_add_f32_e64 v50, v50, 1.0                                // 000000004C30: D1010032 0001E532
	v_add_f32_e64 v51, v51, 1.0                                // 000000004C38: D1010033 0001E533
	v_add_f32_e64 v52, v52, 1.0                                // 000000004C40: D1010034 0001E534
	v_add_f32_e64 v53, v53, 1.0                                // 000000004C48: D1010035 0001E535
	v_rcp_f32_e32 v50, v50                                     // 000000004C50: 7E644532
	v_rcp_f32_e32 v51, v51                                     // 000000004C54: 7E664533
	v_rcp_f32_e32 v52, v52                                     // 000000004C58: 7E684534
	v_rcp_f32_e32 v53, v53                                     // 000000004C5C: 7E6A4535
	v_mul_f32_e32 v140, v140, v50                              // 000000004C60: 0B18658C
	v_mul_f32_e32 v141, v141, v51                              // 000000004C64: 0B1A678D
	v_mul_f32_e32 v142, v142, v52                              // 000000004C68: 0B1C698E
	v_mul_f32_e32 v143, v143, v53                              // 000000004C6C: 0B1E6B8F
	s_waitcnt vmcnt(28)                                        // 000000004C70: BF8C4F7C
	buffer_load_dwordx4 a[32:35], v42, s[12:15], 0 offen       // 000000004C74: E05C1000 8083202A
	v_mul_f32_e64 v50, -v144, s6                               // 000000004C7C: D1050032 20000D90
	v_mul_f32_e64 v51, -v145, s6                               // 000000004C84: D1050033 20000D91
	v_mul_f32_e64 v52, -v146, s6                               // 000000004C8C: D1050034 20000D92
	v_mul_f32_e64 v53, -v147, s6                               // 000000004C94: D1050035 20000D93
	v_exp_f32_e32 v50, v50                                     // 000000004C9C: 7E644132
	v_exp_f32_e32 v51, v51                                     // 000000004CA0: 7E664133
	v_exp_f32_e32 v52, v52                                     // 000000004CA4: 7E684134
	v_exp_f32_e32 v53, v53                                     // 000000004CA8: 7E6A4135
	buffer_load_dwordx4 a[36:39], v43, s[12:15], 0 offen       // 000000004CAC: E05C1000 8083242B
	v_add_f32_e64 v50, v50, 1.0                                // 000000004CB4: D1010032 0001E532
	v_add_f32_e64 v51, v51, 1.0                                // 000000004CBC: D1010033 0001E533
	v_add_f32_e64 v52, v52, 1.0                                // 000000004CC4: D1010034 0001E534
	v_add_f32_e64 v53, v53, 1.0                                // 000000004CCC: D1010035 0001E535
	v_rcp_f32_e32 v50, v50                                     // 000000004CD4: 7E644532
	v_rcp_f32_e32 v51, v51                                     // 000000004CD8: 7E664533
	v_rcp_f32_e32 v52, v52                                     // 000000004CDC: 7E684534
	v_rcp_f32_e32 v53, v53                                     // 000000004CE0: 7E6A4535
	v_mul_f32_e32 v144, v144, v50                              // 000000004CE4: 0B206590
	v_mul_f32_e32 v145, v145, v51                              // 000000004CE8: 0B226791
	v_mul_f32_e32 v146, v146, v52                              // 000000004CEC: 0B246992
	v_mul_f32_e32 v147, v147, v53                              // 000000004CF0: 0B266B93
	buffer_load_dwordx4 a[40:43], v44, s[12:15], 0 offen       // 000000004CF4: E05C1000 8083282C
	v_mul_f32_e64 v50, -v148, s6                               // 000000004CFC: D1050032 20000D94
	v_mul_f32_e64 v51, -v149, s6                               // 000000004D04: D1050033 20000D95
	v_mul_f32_e64 v52, -v150, s6                               // 000000004D0C: D1050034 20000D96
	v_mul_f32_e64 v53, -v151, s6                               // 000000004D14: D1050035 20000D97
	v_exp_f32_e32 v50, v50                                     // 000000004D1C: 7E644132
	v_exp_f32_e32 v51, v51                                     // 000000004D20: 7E664133
	v_exp_f32_e32 v52, v52                                     // 000000004D24: 7E684134
	v_exp_f32_e32 v53, v53                                     // 000000004D28: 7E6A4135
	buffer_load_dwordx4 a[44:47], v45, s[12:15], 0 offen       // 000000004D2C: E05C1000 80832C2D
	s_add_u32 s12, s78, s12                                    // 000000004D34: 800C0C4E
	s_addc_u32 s13, 0, s13                                     // 000000004D38: 820D0D80
	v_add_f32_e64 v50, v50, 1.0                                // 000000004D3C: D1010032 0001E532
	v_add_f32_e64 v51, v51, 1.0                                // 000000004D44: D1010033 0001E533
	v_add_f32_e64 v52, v52, 1.0                                // 000000004D4C: D1010034 0001E534
	v_add_f32_e64 v53, v53, 1.0                                // 000000004D54: D1010035 0001E535
	v_rcp_f32_e32 v50, v50                                     // 000000004D5C: 7E644532
	v_rcp_f32_e32 v51, v51                                     // 000000004D60: 7E664533
	v_rcp_f32_e32 v52, v52                                     // 000000004D64: 7E684534
	v_rcp_f32_e32 v53, v53                                     // 000000004D68: 7E6A4535
	v_mul_f32_e32 v148, v148, v50                              // 000000004D6C: 0B286594
	v_mul_f32_e32 v149, v149, v51                              // 000000004D70: 0B2A6795
	v_mul_f32_e32 v150, v150, v52                              // 000000004D74: 0B2C6996
	v_mul_f32_e32 v151, v151, v53                              // 000000004D78: 0B2E6B97
	s_waitcnt vmcnt(28)                                        // 000000004D7C: BF8C4F7C
	buffer_load_dwordx4 a[48:51], v42, s[12:15], 0 offen       // 000000004D80: E05C1000 8083302A
	v_mul_f32_e64 v50, -v152, s6                               // 000000004D88: D1050032 20000D98
	v_mul_f32_e64 v51, -v153, s6                               // 000000004D90: D1050033 20000D99
	v_mul_f32_e64 v52, -v154, s6                               // 000000004D98: D1050034 20000D9A
	v_mul_f32_e64 v53, -v155, s6                               // 000000004DA0: D1050035 20000D9B
	v_exp_f32_e32 v50, v50                                     // 000000004DA8: 7E644132
	v_exp_f32_e32 v51, v51                                     // 000000004DAC: 7E664133
	v_exp_f32_e32 v52, v52                                     // 000000004DB0: 7E684134
	v_exp_f32_e32 v53, v53                                     // 000000004DB4: 7E6A4135
	buffer_load_dwordx4 a[52:55], v43, s[12:15], 0 offen       // 000000004DB8: E05C1000 8083342B
	v_add_f32_e64 v50, v50, 1.0                                // 000000004DC0: D1010032 0001E532
	v_add_f32_e64 v51, v51, 1.0                                // 000000004DC8: D1010033 0001E533
	v_add_f32_e64 v52, v52, 1.0                                // 000000004DD0: D1010034 0001E534
	v_add_f32_e64 v53, v53, 1.0                                // 000000004DD8: D1010035 0001E535
	v_rcp_f32_e32 v50, v50                                     // 000000004DE0: 7E644532
	v_rcp_f32_e32 v51, v51                                     // 000000004DE4: 7E664533
	v_rcp_f32_e32 v52, v52                                     // 000000004DE8: 7E684534
	v_rcp_f32_e32 v53, v53                                     // 000000004DEC: 7E6A4535
	v_mul_f32_e32 v152, v152, v50                              // 000000004DF0: 0B306598
	v_mul_f32_e32 v153, v153, v51                              // 000000004DF4: 0B326799
	v_mul_f32_e32 v154, v154, v52                              // 000000004DF8: 0B34699A
	v_mul_f32_e32 v155, v155, v53                              // 000000004DFC: 0B366B9B
	buffer_load_dwordx4 a[56:59], v44, s[12:15], 0 offen       // 000000004E00: E05C1000 8083382C
	v_mul_f32_e64 v50, -v156, s6                               // 000000004E08: D1050032 20000D9C
	v_mul_f32_e64 v51, -v157, s6                               // 000000004E10: D1050033 20000D9D
	v_mul_f32_e64 v52, -v158, s6                               // 000000004E18: D1050034 20000D9E
	v_mul_f32_e64 v53, -v159, s6                               // 000000004E20: D1050035 20000D9F
	v_exp_f32_e32 v50, v50                                     // 000000004E28: 7E644132
	v_exp_f32_e32 v51, v51                                     // 000000004E2C: 7E664133
	v_exp_f32_e32 v52, v52                                     // 000000004E30: 7E684134
	v_exp_f32_e32 v53, v53                                     // 000000004E34: 7E6A4135
	buffer_load_dwordx4 a[60:63], v45, s[12:15], 0 offen       // 000000004E38: E05C1000 80833C2D
	s_add_u32 s12, s78, s12                                    // 000000004E40: 800C0C4E
	s_addc_u32 s13, 0, s13                                     // 000000004E44: 820D0D80
	v_add_f32_e64 v50, v50, 1.0                                // 000000004E48: D1010032 0001E532
	v_add_f32_e64 v51, v51, 1.0                                // 000000004E50: D1010033 0001E533
	v_add_f32_e64 v52, v52, 1.0                                // 000000004E58: D1010034 0001E534
	v_add_f32_e64 v53, v53, 1.0                                // 000000004E60: D1010035 0001E535
	v_rcp_f32_e32 v50, v50                                     // 000000004E68: 7E644532
	v_rcp_f32_e32 v51, v51                                     // 000000004E6C: 7E664533
	v_rcp_f32_e32 v52, v52                                     // 000000004E70: 7E684534
	v_rcp_f32_e32 v53, v53                                     // 000000004E74: 7E6A4535
	v_mul_f32_e32 v156, v156, v50                              // 000000004E78: 0B38659C
	v_mul_f32_e32 v157, v157, v51                              // 000000004E7C: 0B3A679D
	v_mul_f32_e32 v158, v158, v52                              // 000000004E80: 0B3C699E
	v_mul_f32_e32 v159, v159, v53                              // 000000004E84: 0B3E6B9F
	s_waitcnt vmcnt(28)                                        // 000000004E88: BF8C4F7C
	buffer_load_dwordx4 a[64:67], v42, s[12:15], 0 offen       // 000000004E8C: E05C1000 8083402A
	v_mul_f32_e64 v50, -v160, s6                               // 000000004E94: D1050032 20000DA0
	v_mul_f32_e64 v51, -v161, s6                               // 000000004E9C: D1050033 20000DA1
	v_mul_f32_e64 v52, -v162, s6                               // 000000004EA4: D1050034 20000DA2
	v_mul_f32_e64 v53, -v163, s6                               // 000000004EAC: D1050035 20000DA3
	v_exp_f32_e32 v50, v50                                     // 000000004EB4: 7E644132
	v_exp_f32_e32 v51, v51                                     // 000000004EB8: 7E664133
	v_exp_f32_e32 v52, v52                                     // 000000004EBC: 7E684134
	v_exp_f32_e32 v53, v53                                     // 000000004EC0: 7E6A4135
	buffer_load_dwordx4 a[68:71], v43, s[12:15], 0 offen       // 000000004EC4: E05C1000 8083442B
	v_add_f32_e64 v50, v50, 1.0                                // 000000004ECC: D1010032 0001E532
	v_add_f32_e64 v51, v51, 1.0                                // 000000004ED4: D1010033 0001E533
	v_add_f32_e64 v52, v52, 1.0                                // 000000004EDC: D1010034 0001E534
	v_add_f32_e64 v53, v53, 1.0                                // 000000004EE4: D1010035 0001E535
	v_rcp_f32_e32 v50, v50                                     // 000000004EEC: 7E644532
	v_rcp_f32_e32 v51, v51                                     // 000000004EF0: 7E664533
	v_rcp_f32_e32 v52, v52                                     // 000000004EF4: 7E684534
	v_rcp_f32_e32 v53, v53                                     // 000000004EF8: 7E6A4535
	v_mul_f32_e32 v160, v160, v50                              // 000000004EFC: 0B4065A0
	v_mul_f32_e32 v161, v161, v51                              // 000000004F00: 0B4267A1
	v_mul_f32_e32 v162, v162, v52                              // 000000004F04: 0B4469A2
	v_mul_f32_e32 v163, v163, v53                              // 000000004F08: 0B466BA3
	buffer_load_dwordx4 a[72:75], v44, s[12:15], 0 offen       // 000000004F0C: E05C1000 8083482C
	v_mul_f32_e64 v50, -v164, s6                               // 000000004F14: D1050032 20000DA4
	v_mul_f32_e64 v51, -v165, s6                               // 000000004F1C: D1050033 20000DA5
	v_mul_f32_e64 v52, -v166, s6                               // 000000004F24: D1050034 20000DA6
	v_mul_f32_e64 v53, -v167, s6                               // 000000004F2C: D1050035 20000DA7
	v_exp_f32_e32 v50, v50                                     // 000000004F34: 7E644132
	v_exp_f32_e32 v51, v51                                     // 000000004F38: 7E664133
	v_exp_f32_e32 v52, v52                                     // 000000004F3C: 7E684134
	v_exp_f32_e32 v53, v53                                     // 000000004F40: 7E6A4135
	buffer_load_dwordx4 a[76:79], v45, s[12:15], 0 offen       // 000000004F44: E05C1000 80834C2D
	s_add_u32 s12, s78, s12                                    // 000000004F4C: 800C0C4E
	s_addc_u32 s13, 0, s13                                     // 000000004F50: 820D0D80
	v_add_f32_e64 v50, v50, 1.0                                // 000000004F54: D1010032 0001E532
	v_add_f32_e64 v51, v51, 1.0                                // 000000004F5C: D1010033 0001E533
	v_add_f32_e64 v52, v52, 1.0                                // 000000004F64: D1010034 0001E534
	v_add_f32_e64 v53, v53, 1.0                                // 000000004F6C: D1010035 0001E535
	v_rcp_f32_e32 v50, v50                                     // 000000004F74: 7E644532
	v_rcp_f32_e32 v51, v51                                     // 000000004F78: 7E664533
	v_rcp_f32_e32 v52, v52                                     // 000000004F7C: 7E684534
	v_rcp_f32_e32 v53, v53                                     // 000000004F80: 7E6A4535
	v_mul_f32_e32 v164, v164, v50                              // 000000004F84: 0B4865A4
	v_mul_f32_e32 v165, v165, v51                              // 000000004F88: 0B4A67A5
	v_mul_f32_e32 v166, v166, v52                              // 000000004F8C: 0B4C69A6
	v_mul_f32_e32 v167, v167, v53                              // 000000004F90: 0B4E6BA7
	s_waitcnt vmcnt(28)                                        // 000000004F94: BF8C4F7C
	buffer_load_dwordx4 a[80:83], v42, s[12:15], 0 offen       // 000000004F98: E05C1000 8083502A
	v_mul_f32_e64 v50, -v168, s6                               // 000000004FA0: D1050032 20000DA8
	v_mul_f32_e64 v51, -v169, s6                               // 000000004FA8: D1050033 20000DA9
	v_mul_f32_e64 v52, -v170, s6                               // 000000004FB0: D1050034 20000DAA
	v_mul_f32_e64 v53, -v171, s6                               // 000000004FB8: D1050035 20000DAB
	v_exp_f32_e32 v50, v50                                     // 000000004FC0: 7E644132
	v_exp_f32_e32 v51, v51                                     // 000000004FC4: 7E664133
	v_exp_f32_e32 v52, v52                                     // 000000004FC8: 7E684134
	v_exp_f32_e32 v53, v53                                     // 000000004FCC: 7E6A4135
	buffer_load_dwordx4 a[84:87], v43, s[12:15], 0 offen       // 000000004FD0: E05C1000 8083542B
	v_add_f32_e64 v50, v50, 1.0                                // 000000004FD8: D1010032 0001E532
	v_add_f32_e64 v51, v51, 1.0                                // 000000004FE0: D1010033 0001E533
	v_add_f32_e64 v52, v52, 1.0                                // 000000004FE8: D1010034 0001E534
	v_add_f32_e64 v53, v53, 1.0                                // 000000004FF0: D1010035 0001E535
	v_rcp_f32_e32 v50, v50                                     // 000000004FF8: 7E644532
	v_rcp_f32_e32 v51, v51                                     // 000000004FFC: 7E664533
	v_rcp_f32_e32 v52, v52                                     // 000000005000: 7E684534
	v_rcp_f32_e32 v53, v53                                     // 000000005004: 7E6A4535
	v_mul_f32_e32 v168, v168, v50                              // 000000005008: 0B5065A8
	v_mul_f32_e32 v169, v169, v51                              // 00000000500C: 0B5267A9
	v_mul_f32_e32 v170, v170, v52                              // 000000005010: 0B5469AA
	v_mul_f32_e32 v171, v171, v53                              // 000000005014: 0B566BAB
	buffer_load_dwordx4 a[88:91], v44, s[12:15], 0 offen       // 000000005018: E05C1000 8083582C
	v_mul_f32_e64 v50, -v172, s6                               // 000000005020: D1050032 20000DAC
	v_mul_f32_e64 v51, -v173, s6                               // 000000005028: D1050033 20000DAD
	v_mul_f32_e64 v52, -v174, s6                               // 000000005030: D1050034 20000DAE
	v_mul_f32_e64 v53, -v175, s6                               // 000000005038: D1050035 20000DAF
	v_exp_f32_e32 v50, v50                                     // 000000005040: 7E644132
	v_exp_f32_e32 v51, v51                                     // 000000005044: 7E664133
	v_exp_f32_e32 v52, v52                                     // 000000005048: 7E684134
	v_exp_f32_e32 v53, v53                                     // 00000000504C: 7E6A4135
	buffer_load_dwordx4 a[92:95], v45, s[12:15], 0 offen       // 000000005050: E05C1000 80835C2D
	s_add_u32 s12, s78, s12                                    // 000000005058: 800C0C4E
	s_addc_u32 s13, 0, s13                                     // 00000000505C: 820D0D80
	v_add_f32_e64 v50, v50, 1.0                                // 000000005060: D1010032 0001E532
	v_add_f32_e64 v51, v51, 1.0                                // 000000005068: D1010033 0001E533
	v_add_f32_e64 v52, v52, 1.0                                // 000000005070: D1010034 0001E534
	v_add_f32_e64 v53, v53, 1.0                                // 000000005078: D1010035 0001E535
	v_rcp_f32_e32 v50, v50                                     // 000000005080: 7E644532
	v_rcp_f32_e32 v51, v51                                     // 000000005084: 7E664533
	v_rcp_f32_e32 v52, v52                                     // 000000005088: 7E684534
	v_rcp_f32_e32 v53, v53                                     // 00000000508C: 7E6A4535
	v_mul_f32_e32 v172, v172, v50                              // 000000005090: 0B5865AC
	v_mul_f32_e32 v173, v173, v51                              // 000000005094: 0B5A67AD
	v_mul_f32_e32 v174, v174, v52                              // 000000005098: 0B5C69AE
	v_mul_f32_e32 v175, v175, v53                              // 00000000509C: 0B5E6BAF
	s_waitcnt vmcnt(28)                                        // 0000000050A0: BF8C4F7C
	buffer_load_dwordx4 a[96:99], v42, s[12:15], 0 offen       // 0000000050A4: E05C1000 8083602A
	v_mul_f32_e64 v50, -v176, s6                               // 0000000050AC: D1050032 20000DB0
	v_mul_f32_e64 v51, -v177, s6                               // 0000000050B4: D1050033 20000DB1
	v_mul_f32_e64 v52, -v178, s6                               // 0000000050BC: D1050034 20000DB2
	v_mul_f32_e64 v53, -v179, s6                               // 0000000050C4: D1050035 20000DB3
	v_exp_f32_e32 v50, v50                                     // 0000000050CC: 7E644132
	v_exp_f32_e32 v51, v51                                     // 0000000050D0: 7E664133
	v_exp_f32_e32 v52, v52                                     // 0000000050D4: 7E684134
	v_exp_f32_e32 v53, v53                                     // 0000000050D8: 7E6A4135
	buffer_load_dwordx4 a[100:103], v43, s[12:15], 0 offen     // 0000000050DC: E05C1000 8083642B
	v_add_f32_e64 v50, v50, 1.0                                // 0000000050E4: D1010032 0001E532
	v_add_f32_e64 v51, v51, 1.0                                // 0000000050EC: D1010033 0001E533
	v_add_f32_e64 v52, v52, 1.0                                // 0000000050F4: D1010034 0001E534
	v_add_f32_e64 v53, v53, 1.0                                // 0000000050FC: D1010035 0001E535
	v_rcp_f32_e32 v50, v50                                     // 000000005104: 7E644532
	v_rcp_f32_e32 v51, v51                                     // 000000005108: 7E664533
	v_rcp_f32_e32 v52, v52                                     // 00000000510C: 7E684534
	v_rcp_f32_e32 v53, v53                                     // 000000005110: 7E6A4535
	v_mul_f32_e32 v176, v176, v50                              // 000000005114: 0B6065B0
	v_mul_f32_e32 v177, v177, v51                              // 000000005118: 0B6267B1
	v_mul_f32_e32 v178, v178, v52                              // 00000000511C: 0B6469B2
	v_mul_f32_e32 v179, v179, v53                              // 000000005120: 0B666BB3
	buffer_load_dwordx4 a[104:107], v44, s[12:15], 0 offen     // 000000005124: E05C1000 8083682C
	v_mul_f32_e64 v50, -v180, s6                               // 00000000512C: D1050032 20000DB4
	v_mul_f32_e64 v51, -v181, s6                               // 000000005134: D1050033 20000DB5
	v_mul_f32_e64 v52, -v182, s6                               // 00000000513C: D1050034 20000DB6
	v_mul_f32_e64 v53, -v183, s6                               // 000000005144: D1050035 20000DB7
	v_exp_f32_e32 v50, v50                                     // 00000000514C: 7E644132
	v_exp_f32_e32 v51, v51                                     // 000000005150: 7E664133
	v_exp_f32_e32 v52, v52                                     // 000000005154: 7E684134
	v_exp_f32_e32 v53, v53                                     // 000000005158: 7E6A4135
	buffer_load_dwordx4 a[108:111], v45, s[12:15], 0 offen     // 00000000515C: E05C1000 80836C2D
	s_add_u32 s12, s78, s12                                    // 000000005164: 800C0C4E
	s_addc_u32 s13, 0, s13                                     // 000000005168: 820D0D80
	v_add_f32_e64 v50, v50, 1.0                                // 00000000516C: D1010032 0001E532
	v_add_f32_e64 v51, v51, 1.0                                // 000000005174: D1010033 0001E533
	v_add_f32_e64 v52, v52, 1.0                                // 00000000517C: D1010034 0001E534
	v_add_f32_e64 v53, v53, 1.0                                // 000000005184: D1010035 0001E535
	v_rcp_f32_e32 v50, v50                                     // 00000000518C: 7E644532
	v_rcp_f32_e32 v51, v51                                     // 000000005190: 7E664533
	v_rcp_f32_e32 v52, v52                                     // 000000005194: 7E684534
	v_rcp_f32_e32 v53, v53                                     // 000000005198: 7E6A4535
	v_mul_f32_e32 v180, v180, v50                              // 00000000519C: 0B6865B4
	v_mul_f32_e32 v181, v181, v51                              // 0000000051A0: 0B6A67B5
	v_mul_f32_e32 v182, v182, v52                              // 0000000051A4: 0B6C69B6
	v_mul_f32_e32 v183, v183, v53                              // 0000000051A8: 0B6E6BB7
	s_waitcnt vmcnt(28)                                        // 0000000051AC: BF8C4F7C
	buffer_load_dwordx4 a[112:115], v42, s[12:15], 0 offen     // 0000000051B0: E05C1000 8083702A
	v_mul_f32_e64 v50, -v184, s6                               // 0000000051B8: D1050032 20000DB8
	v_mul_f32_e64 v51, -v185, s6                               // 0000000051C0: D1050033 20000DB9
	v_mul_f32_e64 v52, -v186, s6                               // 0000000051C8: D1050034 20000DBA
	v_mul_f32_e64 v53, -v187, s6                               // 0000000051D0: D1050035 20000DBB
	v_exp_f32_e32 v50, v50                                     // 0000000051D8: 7E644132
	v_exp_f32_e32 v51, v51                                     // 0000000051DC: 7E664133
	v_exp_f32_e32 v52, v52                                     // 0000000051E0: 7E684134
	v_exp_f32_e32 v53, v53                                     // 0000000051E4: 7E6A4135
	buffer_load_dwordx4 a[116:119], v43, s[12:15], 0 offen     // 0000000051E8: E05C1000 8083742B
	v_add_f32_e64 v50, v50, 1.0                                // 0000000051F0: D1010032 0001E532
	v_add_f32_e64 v51, v51, 1.0                                // 0000000051F8: D1010033 0001E533
	v_add_f32_e64 v52, v52, 1.0                                // 000000005200: D1010034 0001E534
	v_add_f32_e64 v53, v53, 1.0                                // 000000005208: D1010035 0001E535
	v_rcp_f32_e32 v50, v50                                     // 000000005210: 7E644532
	v_rcp_f32_e32 v51, v51                                     // 000000005214: 7E664533
	v_rcp_f32_e32 v52, v52                                     // 000000005218: 7E684534
	v_rcp_f32_e32 v53, v53                                     // 00000000521C: 7E6A4535
	v_mul_f32_e32 v184, v184, v50                              // 000000005220: 0B7065B8
	v_mul_f32_e32 v185, v185, v51                              // 000000005224: 0B7267B9
	v_mul_f32_e32 v186, v186, v52                              // 000000005228: 0B7469BA
	v_mul_f32_e32 v187, v187, v53                              // 00000000522C: 0B766BBB
	buffer_load_dwordx4 a[120:123], v44, s[12:15], 0 offen     // 000000005230: E05C1000 8083782C
	v_mul_f32_e64 v50, -v188, s6                               // 000000005238: D1050032 20000DBC
	v_mul_f32_e64 v51, -v189, s6                               // 000000005240: D1050033 20000DBD
	v_mul_f32_e64 v52, -v190, s6                               // 000000005248: D1050034 20000DBE
	v_mul_f32_e64 v53, -v191, s6                               // 000000005250: D1050035 20000DBF
	v_exp_f32_e32 v50, v50                                     // 000000005258: 7E644132
	v_exp_f32_e32 v51, v51                                     // 00000000525C: 7E664133
	v_exp_f32_e32 v52, v52                                     // 000000005260: 7E684134
	v_exp_f32_e32 v53, v53                                     // 000000005264: 7E6A4135
	buffer_load_dwordx4 a[124:127], v45, s[12:15], 0 offen     // 000000005268: E05C1000 80837C2D
	v_add_f32_e64 v50, v50, 1.0                                // 000000005270: D1010032 0001E532
	v_add_f32_e64 v51, v51, 1.0                                // 000000005278: D1010033 0001E533
	v_add_f32_e64 v52, v52, 1.0                                // 000000005280: D1010034 0001E534
	v_add_f32_e64 v53, v53, 1.0                                // 000000005288: D1010035 0001E535
	v_rcp_f32_e32 v50, v50                                     // 000000005290: 7E644532
	v_rcp_f32_e32 v51, v51                                     // 000000005294: 7E664533
	v_rcp_f32_e32 v52, v52                                     // 000000005298: 7E684534
	v_rcp_f32_e32 v53, v53                                     // 00000000529C: 7E6A4535
	v_mul_f32_e32 v188, v188, v50                              // 0000000052A0: 0B7865BC
	v_mul_f32_e32 v189, v189, v51                              // 0000000052A4: 0B7A67BD
	v_mul_f32_e32 v190, v190, v52                              // 0000000052A8: 0B7C69BE
	v_mul_f32_e32 v191, v191, v53                              // 0000000052AC: 0B7E6BBF
	v_mul_f32_dpp v128, v18, v128 row_newbcast:0 row_mask:0xf bank_mask:0xf// 0000000052B0: 0B0100FA FF015012
	v_mul_f32_dpp v129, v18, v129 row_newbcast:1 row_mask:0xf bank_mask:0xf// 0000000052B8: 0B0302FA FF015112
	v_mul_f32_dpp v130, v18, v130 row_newbcast:2 row_mask:0xf bank_mask:0xf// 0000000052C0: 0B0504FA FF015212
	v_mul_f32_dpp v131, v18, v131 row_newbcast:3 row_mask:0xf bank_mask:0xf// 0000000052C8: 0B0706FA FF015312
	v_mul_f32_dpp v132, v18, v132 row_newbcast:0 row_mask:0xf bank_mask:0xf// 0000000052D0: 0B0908FA FF015012
	v_mul_f32_dpp v133, v18, v133 row_newbcast:1 row_mask:0xf bank_mask:0xf// 0000000052D8: 0B0B0AFA FF015112
	v_mul_f32_dpp v134, v18, v134 row_newbcast:2 row_mask:0xf bank_mask:0xf// 0000000052E0: 0B0D0CFA FF015212
	v_mul_f32_dpp v135, v18, v135 row_newbcast:3 row_mask:0xf bank_mask:0xf// 0000000052E8: 0B0F0EFA FF015312
	v_mul_f32_dpp v136, v18, v136 row_newbcast:4 row_mask:0xf bank_mask:0xf// 0000000052F0: 0B1110FA FF015412
	v_mul_f32_dpp v137, v18, v137 row_newbcast:5 row_mask:0xf bank_mask:0xf// 0000000052F8: 0B1312FA FF015512
	v_mul_f32_dpp v138, v18, v138 row_newbcast:6 row_mask:0xf bank_mask:0xf// 000000005300: 0B1514FA FF015612
	v_mul_f32_dpp v139, v18, v139 row_newbcast:7 row_mask:0xf bank_mask:0xf// 000000005308: 0B1716FA FF015712
	v_mul_f32_dpp v140, v18, v140 row_newbcast:4 row_mask:0xf bank_mask:0xf// 000000005310: 0B1918FA FF015412
	v_mul_f32_dpp v141, v18, v141 row_newbcast:5 row_mask:0xf bank_mask:0xf// 000000005318: 0B1B1AFA FF015512
	v_mul_f32_dpp v142, v18, v142 row_newbcast:6 row_mask:0xf bank_mask:0xf// 000000005320: 0B1D1CFA FF015612
	v_mul_f32_dpp v143, v18, v143 row_newbcast:7 row_mask:0xf bank_mask:0xf// 000000005328: 0B1F1EFA FF015712
	v_mul_f32_dpp v144, v18, v144 row_newbcast:8 row_mask:0xf bank_mask:0xf// 000000005330: 0B2120FA FF015812
	v_mul_f32_dpp v145, v18, v145 row_newbcast:9 row_mask:0xf bank_mask:0xf// 000000005338: 0B2322FA FF015912
	v_mul_f32_dpp v146, v18, v146 row_newbcast:10 row_mask:0xf bank_mask:0xf// 000000005340: 0B2524FA FF015A12
	v_mul_f32_dpp v147, v18, v147 row_newbcast:11 row_mask:0xf bank_mask:0xf// 000000005348: 0B2726FA FF015B12
	v_mul_f32_dpp v148, v18, v148 row_newbcast:8 row_mask:0xf bank_mask:0xf// 000000005350: 0B2928FA FF015812
	v_mul_f32_dpp v149, v18, v149 row_newbcast:9 row_mask:0xf bank_mask:0xf// 000000005358: 0B2B2AFA FF015912
	v_mul_f32_dpp v150, v18, v150 row_newbcast:10 row_mask:0xf bank_mask:0xf// 000000005360: 0B2D2CFA FF015A12
	v_mul_f32_dpp v151, v18, v151 row_newbcast:11 row_mask:0xf bank_mask:0xf// 000000005368: 0B2F2EFA FF015B12
	v_mul_f32_dpp v152, v18, v152 row_newbcast:12 row_mask:0xf bank_mask:0xf// 000000005370: 0B3130FA FF015C12
	v_mul_f32_dpp v153, v18, v153 row_newbcast:13 row_mask:0xf bank_mask:0xf// 000000005378: 0B3332FA FF015D12
	v_mul_f32_dpp v154, v18, v154 row_newbcast:14 row_mask:0xf bank_mask:0xf// 000000005380: 0B3534FA FF015E12
	v_mul_f32_dpp v155, v18, v155 row_newbcast:15 row_mask:0xf bank_mask:0xf// 000000005388: 0B3736FA FF015F12
	v_mul_f32_dpp v156, v18, v156 row_newbcast:12 row_mask:0xf bank_mask:0xf// 000000005390: 0B3938FA FF015C12
	v_mul_f32_dpp v157, v18, v157 row_newbcast:13 row_mask:0xf bank_mask:0xf// 000000005398: 0B3B3AFA FF015D12
	v_mul_f32_dpp v158, v18, v158 row_newbcast:14 row_mask:0xf bank_mask:0xf// 0000000053A0: 0B3D3CFA FF015E12
	v_mul_f32_dpp v159, v18, v159 row_newbcast:15 row_mask:0xf bank_mask:0xf// 0000000053A8: 0B3F3EFA FF015F12
	v_mul_f32_dpp v160, v19, v160 row_newbcast:0 row_mask:0xf bank_mask:0xf// 0000000053B0: 0B4140FA FF015013
	v_mul_f32_dpp v161, v19, v161 row_newbcast:1 row_mask:0xf bank_mask:0xf// 0000000053B8: 0B4342FA FF015113
	v_mul_f32_dpp v162, v19, v162 row_newbcast:2 row_mask:0xf bank_mask:0xf// 0000000053C0: 0B4544FA FF015213
	v_mul_f32_dpp v163, v19, v163 row_newbcast:3 row_mask:0xf bank_mask:0xf// 0000000053C8: 0B4746FA FF015313
	v_mul_f32_dpp v164, v19, v164 row_newbcast:0 row_mask:0xf bank_mask:0xf// 0000000053D0: 0B4948FA FF015013
	v_mul_f32_dpp v165, v19, v165 row_newbcast:1 row_mask:0xf bank_mask:0xf// 0000000053D8: 0B4B4AFA FF015113
	v_mul_f32_dpp v166, v19, v166 row_newbcast:2 row_mask:0xf bank_mask:0xf// 0000000053E0: 0B4D4CFA FF015213
	v_mul_f32_dpp v167, v19, v167 row_newbcast:3 row_mask:0xf bank_mask:0xf// 0000000053E8: 0B4F4EFA FF015313
	v_mul_f32_dpp v168, v19, v168 row_newbcast:4 row_mask:0xf bank_mask:0xf// 0000000053F0: 0B5150FA FF015413
	v_mul_f32_dpp v169, v19, v169 row_newbcast:5 row_mask:0xf bank_mask:0xf// 0000000053F8: 0B5352FA FF015513
	v_mul_f32_dpp v170, v19, v170 row_newbcast:6 row_mask:0xf bank_mask:0xf// 000000005400: 0B5554FA FF015613
	v_mul_f32_dpp v171, v19, v171 row_newbcast:7 row_mask:0xf bank_mask:0xf// 000000005408: 0B5756FA FF015713
	v_mul_f32_dpp v172, v19, v172 row_newbcast:4 row_mask:0xf bank_mask:0xf// 000000005410: 0B5958FA FF015413
	v_mul_f32_dpp v173, v19, v173 row_newbcast:5 row_mask:0xf bank_mask:0xf// 000000005418: 0B5B5AFA FF015513
	v_mul_f32_dpp v174, v19, v174 row_newbcast:6 row_mask:0xf bank_mask:0xf// 000000005420: 0B5D5CFA FF015613
	v_mul_f32_dpp v175, v19, v175 row_newbcast:7 row_mask:0xf bank_mask:0xf// 000000005428: 0B5F5EFA FF015713
	v_mul_f32_dpp v176, v19, v176 row_newbcast:8 row_mask:0xf bank_mask:0xf// 000000005430: 0B6160FA FF015813
	v_mul_f32_dpp v177, v19, v177 row_newbcast:9 row_mask:0xf bank_mask:0xf// 000000005438: 0B6362FA FF015913
	v_mul_f32_dpp v178, v19, v178 row_newbcast:10 row_mask:0xf bank_mask:0xf// 000000005440: 0B6564FA FF015A13
	v_mul_f32_dpp v179, v19, v179 row_newbcast:11 row_mask:0xf bank_mask:0xf// 000000005448: 0B6766FA FF015B13
	v_mul_f32_dpp v180, v19, v180 row_newbcast:8 row_mask:0xf bank_mask:0xf// 000000005450: 0B6968FA FF015813
	v_mul_f32_dpp v181, v19, v181 row_newbcast:9 row_mask:0xf bank_mask:0xf// 000000005458: 0B6B6AFA FF015913
	v_mul_f32_dpp v182, v19, v182 row_newbcast:10 row_mask:0xf bank_mask:0xf// 000000005460: 0B6D6CFA FF015A13
	v_mul_f32_dpp v183, v19, v183 row_newbcast:11 row_mask:0xf bank_mask:0xf// 000000005468: 0B6F6EFA FF015B13
	v_mul_f32_dpp v184, v19, v184 row_newbcast:12 row_mask:0xf bank_mask:0xf// 000000005470: 0B7170FA FF015C13
	v_mul_f32_dpp v185, v19, v185 row_newbcast:13 row_mask:0xf bank_mask:0xf// 000000005478: 0B7372FA FF015D13
	v_mul_f32_dpp v186, v19, v186 row_newbcast:14 row_mask:0xf bank_mask:0xf// 000000005480: 0B7574FA FF015E13
	v_mul_f32_dpp v187, v19, v187 row_newbcast:15 row_mask:0xf bank_mask:0xf// 000000005488: 0B7776FA FF015F13
	v_mul_f32_dpp v188, v19, v188 row_newbcast:12 row_mask:0xf bank_mask:0xf// 000000005490: 0B7978FA FF015C13
	v_mul_f32_dpp v189, v19, v189 row_newbcast:13 row_mask:0xf bank_mask:0xf// 000000005498: 0B7B7AFA FF015D13
	v_mul_f32_dpp v190, v19, v190 row_newbcast:14 row_mask:0xf bank_mask:0xf// 0000000054A0: 0B7D7CFA FF015E13
	v_mul_f32_dpp v191, v19, v191 row_newbcast:15 row_mask:0xf bank_mask:0xf// 0000000054A8: 0B7F7EFA FF015F13
	buffer_load_dword v12, v5, s[16:19], 0 offen               // 0000000054B0: E0501000 80040C05
	v_mov_b32_e32 v22, 0x358637bd                              // 0000000054B8: 7E2C02FF 358637BD
	v_mov_b32_e32 v23, 0x358637bd                              // 0000000054C0: 7E2E02FF 358637BD
	v_max3_f32 v22, |v128|, |v129|, v22                        // 0000000054C8: D1D30316 045B0380
	v_max3_f32 v22, |v130|, |v131|, v22                        // 0000000054D0: D1D30316 045B0782
	v_max3_f32 v23, |v132|, |v133|, v23                        // 0000000054D8: D1D30317 045F0B84
	v_max3_f32 v23, |v134|, |v135|, v23                        // 0000000054E0: D1D30317 045F0F86
	v_max3_f32 v22, |v136|, |v137|, v22                        // 0000000054E8: D1D30316 045B1388
	v_max3_f32 v22, |v138|, |v139|, v22                        // 0000000054F0: D1D30316 045B178A
	v_max3_f32 v23, |v140|, |v141|, v23                        // 0000000054F8: D1D30317 045F1B8C
	v_max3_f32 v23, |v142|, |v143|, v23                        // 000000005500: D1D30317 045F1F8E
	v_max3_f32 v22, |v144|, |v145|, v22                        // 000000005508: D1D30316 045B2390
	v_max3_f32 v22, |v146|, |v147|, v22                        // 000000005510: D1D30316 045B2792
	v_max3_f32 v23, |v148|, |v149|, v23                        // 000000005518: D1D30317 045F2B94
	v_max3_f32 v23, |v150|, |v151|, v23                        // 000000005520: D1D30317 045F2F96
	v_max3_f32 v22, |v152|, |v153|, v22                        // 000000005528: D1D30316 045B3398
	v_max3_f32 v22, |v154|, |v155|, v22                        // 000000005530: D1D30316 045B379A
	v_max3_f32 v23, |v156|, |v157|, v23                        // 000000005538: D1D30317 045F3B9C
	v_max3_f32 v23, |v158|, |v159|, v23                        // 000000005540: D1D30317 045F3F9E
	v_max3_f32 v22, |v160|, |v161|, v22                        // 000000005548: D1D30316 045B43A0
	v_max3_f32 v22, |v162|, |v163|, v22                        // 000000005550: D1D30316 045B47A2
	v_max3_f32 v23, |v164|, |v165|, v23                        // 000000005558: D1D30317 045F4BA4
	v_max3_f32 v23, |v166|, |v167|, v23                        // 000000005560: D1D30317 045F4FA6
	v_max3_f32 v22, |v168|, |v169|, v22                        // 000000005568: D1D30316 045B53A8
	v_max3_f32 v22, |v170|, |v171|, v22                        // 000000005570: D1D30316 045B57AA
	v_max3_f32 v23, |v172|, |v173|, v23                        // 000000005578: D1D30317 045F5BAC
	v_max3_f32 v23, |v174|, |v175|, v23                        // 000000005580: D1D30317 045F5FAE
	v_max3_f32 v22, |v176|, |v177|, v22                        // 000000005588: D1D30316 045B63B0
	v_max3_f32 v22, |v178|, |v179|, v22                        // 000000005590: D1D30316 045B67B2
	v_max3_f32 v23, |v180|, |v181|, v23                        // 000000005598: D1D30317 045F6BB4
	v_max3_f32 v23, |v182|, |v183|, v23                        // 0000000055A0: D1D30317 045F6FB6
	v_max3_f32 v22, |v184|, |v185|, v22                        // 0000000055A8: D1D30316 045B73B8
	v_max3_f32 v22, |v186|, |v187|, v22                        // 0000000055B0: D1D30316 045B77BA
	v_max3_f32 v23, |v188|, |v189|, v23                        // 0000000055B8: D1D30317 045F7BBC
	v_max3_f32 v23, |v190|, |v191|, v23                        // 0000000055C0: D1D30317 045F7FBE
	v_lshlrev_b32_e32 v50, 3, v0                               // 0000000055C8: 24640083
	s_mul_i32 s60, 0x200, s7                                   // 0000000055CC: 923C07FF 00000200
	v_add_u32_e32 v50, s60, v50                                // 0000000055D4: 6864643C
	ds_write_b64 v50, v[22:23] offset:16640                    // 0000000055D8: D89A4100 00001632
	s_waitcnt lgkmcnt(0)                                       // 0000000055E0: BF8CC07F
	s_barrier                                                  // 0000000055E4: BF8A0000
	v_and_b32_e32 v50, 15, v0                                  // 0000000055E8: 2664008F
	v_lshlrev_b32_e32 v50, 3, v50                              // 0000000055EC: 24646483
	ds_read_b64 v[96:97], v50 offset:16640                     // 0000000055F0: D8EC4100 60000032
	ds_read_b64 v[98:99], v50 offset:16768                     // 0000000055F8: D8EC4180 62000032
	ds_read_b64 v[100:101], v50 offset:16896                   // 000000005600: D8EC4200 64000032
	ds_read_b64 v[102:103], v50 offset:17024                   // 000000005608: D8EC4280 66000032
	ds_read_b64 v[104:105], v50 offset:17152                   // 000000005610: D8EC4300 68000032
	ds_read_b64 v[106:107], v50 offset:17280                   // 000000005618: D8EC4380 6A000032
	ds_read_b64 v[108:109], v50 offset:17408                   // 000000005620: D8EC4400 6C000032
	ds_read_b64 v[110:111], v50 offset:17536                   // 000000005628: D8EC4480 6E000032
	ds_read_b64 v[112:113], v50 offset:17664                   // 000000005630: D8EC4500 70000032
	ds_read_b64 v[114:115], v50 offset:17792                   // 000000005638: D8EC4580 72000032
	ds_read_b64 v[116:117], v50 offset:17920                   // 000000005640: D8EC4600 74000032
	ds_read_b64 v[118:119], v50 offset:18048                   // 000000005648: D8EC4680 76000032
	ds_read_b64 v[120:121], v50 offset:18176                   // 000000005650: D8EC4700 78000032
	ds_read_b64 v[122:123], v50 offset:18304                   // 000000005658: D8EC4780 7A000032
	ds_read_b64 v[124:125], v50 offset:18432                   // 000000005660: D8EC4800 7C000032
	ds_read_b64 v[126:127], v50 offset:18560                   // 000000005668: D8EC4880 7E000032
	s_waitcnt lgkmcnt(0)                                       // 000000005670: BF8CC07F
	v_max3_f32 v22, |v96|, |v98|, v22                          // 000000005674: D1D30316 045AC560
	v_max3_f32 v23, |v97|, |v99|, v23                          // 00000000567C: D1D30317 045EC761
	v_max3_f32 v22, |v100|, |v102|, v22                        // 000000005684: D1D30316 045ACD64
	v_max3_f32 v23, |v101|, |v103|, v23                        // 00000000568C: D1D30317 045ECF65
	v_max3_f32 v22, |v104|, |v106|, v22                        // 000000005694: D1D30316 045AD568
	v_max3_f32 v23, |v105|, |v107|, v23                        // 00000000569C: D1D30317 045ED769
	v_max3_f32 v22, |v108|, |v110|, v22                        // 0000000056A4: D1D30316 045ADD6C
	v_max3_f32 v23, |v109|, |v111|, v23                        // 0000000056AC: D1D30317 045EDF6D
	v_max3_f32 v22, |v112|, |v114|, v22                        // 0000000056B4: D1D30316 045AE570
	v_max3_f32 v23, |v113|, |v115|, v23                        // 0000000056BC: D1D30317 045EE771
	v_max3_f32 v22, |v116|, |v118|, v22                        // 0000000056C4: D1D30316 045AED74
	v_max3_f32 v23, |v117|, |v119|, v23                        // 0000000056CC: D1D30317 045EEF75
	v_max3_f32 v22, |v120|, |v122|, v22                        // 0000000056D4: D1D30316 045AF578
	v_max3_f32 v23, |v121|, |v123|, v23                        // 0000000056DC: D1D30317 045EF779
	v_max3_f32 v22, |v124|, |v126|, v22                        // 0000000056E4: D1D30316 045AFD7C
	v_max3_f32 v23, |v125|, |v127|, v23                        // 0000000056EC: D1D30317 045EFF7D
	v_rcp_f32_e32 v22, v22                                     // 0000000056F4: 7E2C4516
	v_rcp_f32_e32 v23, v23                                     // 0000000056F8: 7E2E4517
	v_mul_f32_e32 v22, 0x42fe0000, v22                         // 0000000056FC: 0A2C2CFF 42FE0000
	v_mul_f32_e32 v23, 0x42fe0000, v23                         // 000000005704: 0A2E2EFF 42FE0000
	v_mul_f32_e32 v128, v22, v128                              // 00000000570C: 0B010116
	v_mul_f32_e32 v129, v22, v129                              // 000000005710: 0B030316
	v_mul_f32_e32 v130, v22, v130                              // 000000005714: 0B050516
	v_mul_f32_e32 v131, v22, v131                              // 000000005718: 0B070716
	v_cvt_i32_f32_e32 v128, v128                               // 00000000571C: 7F001180
	v_cvt_i32_f32_e32 v129, v129                               // 000000005720: 7F021181
	v_cvt_i32_f32_e32 v130, v130                               // 000000005724: 7F041182
	v_cvt_i32_f32_e32 v131, v131                               // 000000005728: 7F061183
	v_perm_b32 v128, v129, v128, s53                           // 00000000572C: D1ED0080 00D70181
	v_perm_b32 v128, v130, v128, s54                           // 000000005734: D1ED0080 00DB0182
	v_perm_b32 v128, v131, v128, s55                           // 00000000573C: D1ED0080 00DF0183
	v_mul_f32_e32 v132, v23, v132                              // 000000005744: 0B090917
	v_mul_f32_e32 v133, v23, v133                              // 000000005748: 0B0B0B17
	v_mul_f32_e32 v134, v23, v134                              // 00000000574C: 0B0D0D17
	v_mul_f32_e32 v135, v23, v135                              // 000000005750: 0B0F0F17
	v_cvt_i32_f32_e32 v132, v132                               // 000000005754: 7F081184
	v_cvt_i32_f32_e32 v133, v133                               // 000000005758: 7F0A1185
	v_cvt_i32_f32_e32 v134, v134                               // 00000000575C: 7F0C1186
	v_cvt_i32_f32_e32 v135, v135                               // 000000005760: 7F0E1187
	v_perm_b32 v129, v133, v132, s53                           // 000000005764: D1ED0081 00D70985
	v_perm_b32 v129, v134, v129, s54                           // 00000000576C: D1ED0081 00DB0386
	v_perm_b32 v129, v135, v129, s55                           // 000000005774: D1ED0081 00DF0387
	v_mul_f32_e32 v136, v22, v136                              // 00000000577C: 0B111116
	v_mul_f32_e32 v137, v22, v137                              // 000000005780: 0B131316
	v_mul_f32_e32 v138, v22, v138                              // 000000005784: 0B151516
	v_mul_f32_e32 v139, v22, v139                              // 000000005788: 0B171716
	v_cvt_i32_f32_e32 v136, v136                               // 00000000578C: 7F101188
	v_cvt_i32_f32_e32 v137, v137                               // 000000005790: 7F121189
	v_cvt_i32_f32_e32 v138, v138                               // 000000005794: 7F14118A
	v_cvt_i32_f32_e32 v139, v139                               // 000000005798: 7F16118B
	v_perm_b32 v130, v137, v136, s53                           // 00000000579C: D1ED0082 00D71189
	v_perm_b32 v130, v138, v130, s54                           // 0000000057A4: D1ED0082 00DB058A
	v_perm_b32 v130, v139, v130, s55                           // 0000000057AC: D1ED0082 00DF058B
	v_mul_f32_e32 v140, v23, v140                              // 0000000057B4: 0B191917
	v_mul_f32_e32 v141, v23, v141                              // 0000000057B8: 0B1B1B17
	v_mul_f32_e32 v142, v23, v142                              // 0000000057BC: 0B1D1D17
	v_mul_f32_e32 v143, v23, v143                              // 0000000057C0: 0B1F1F17
	v_cvt_i32_f32_e32 v140, v140                               // 0000000057C4: 7F18118C
	v_cvt_i32_f32_e32 v141, v141                               // 0000000057C8: 7F1A118D
	v_cvt_i32_f32_e32 v142, v142                               // 0000000057CC: 7F1C118E
	v_cvt_i32_f32_e32 v143, v143                               // 0000000057D0: 7F1E118F
	v_perm_b32 v131, v141, v140, s53                           // 0000000057D4: D1ED0083 00D7198D
	v_perm_b32 v131, v142, v131, s54                           // 0000000057DC: D1ED0083 00DB078E
	v_perm_b32 v131, v143, v131, s55                           // 0000000057E4: D1ED0083 00DF078F
	v_mul_f32_e32 v144, v22, v144                              // 0000000057EC: 0B212116
	v_mul_f32_e32 v145, v22, v145                              // 0000000057F0: 0B232316
	v_mul_f32_e32 v146, v22, v146                              // 0000000057F4: 0B252516
	v_mul_f32_e32 v147, v22, v147                              // 0000000057F8: 0B272716
	v_cvt_i32_f32_e32 v144, v144                               // 0000000057FC: 7F201190
	v_cvt_i32_f32_e32 v145, v145                               // 000000005800: 7F221191
	v_cvt_i32_f32_e32 v146, v146                               // 000000005804: 7F241192
	v_cvt_i32_f32_e32 v147, v147                               // 000000005808: 7F261193
	v_perm_b32 v132, v145, v144, s53                           // 00000000580C: D1ED0084 00D72191
	v_perm_b32 v132, v146, v132, s54                           // 000000005814: D1ED0084 00DB0992
	v_perm_b32 v132, v147, v132, s55                           // 00000000581C: D1ED0084 00DF0993
	v_mul_f32_e32 v148, v23, v148                              // 000000005824: 0B292917
	v_mul_f32_e32 v149, v23, v149                              // 000000005828: 0B2B2B17
	v_mul_f32_e32 v150, v23, v150                              // 00000000582C: 0B2D2D17
	v_mul_f32_e32 v151, v23, v151                              // 000000005830: 0B2F2F17
	v_cvt_i32_f32_e32 v148, v148                               // 000000005834: 7F281194
	v_cvt_i32_f32_e32 v149, v149                               // 000000005838: 7F2A1195
	v_cvt_i32_f32_e32 v150, v150                               // 00000000583C: 7F2C1196
	v_cvt_i32_f32_e32 v151, v151                               // 000000005840: 7F2E1197
	v_perm_b32 v133, v149, v148, s53                           // 000000005844: D1ED0085 00D72995
	v_perm_b32 v133, v150, v133, s54                           // 00000000584C: D1ED0085 00DB0B96
	v_perm_b32 v133, v151, v133, s55                           // 000000005854: D1ED0085 00DF0B97
	v_mul_f32_e32 v152, v22, v152                              // 00000000585C: 0B313116
	v_mul_f32_e32 v153, v22, v153                              // 000000005860: 0B333316
	v_mul_f32_e32 v154, v22, v154                              // 000000005864: 0B353516
	v_mul_f32_e32 v155, v22, v155                              // 000000005868: 0B373716
	v_cvt_i32_f32_e32 v152, v152                               // 00000000586C: 7F301198
	v_cvt_i32_f32_e32 v153, v153                               // 000000005870: 7F321199
	v_cvt_i32_f32_e32 v154, v154                               // 000000005874: 7F34119A
	v_cvt_i32_f32_e32 v155, v155                               // 000000005878: 7F36119B
	v_perm_b32 v134, v153, v152, s53                           // 00000000587C: D1ED0086 00D73199
	v_perm_b32 v134, v154, v134, s54                           // 000000005884: D1ED0086 00DB0D9A
	v_perm_b32 v134, v155, v134, s55                           // 00000000588C: D1ED0086 00DF0D9B
	v_mul_f32_e32 v156, v23, v156                              // 000000005894: 0B393917
	v_mul_f32_e32 v157, v23, v157                              // 000000005898: 0B3B3B17
	v_mul_f32_e32 v158, v23, v158                              // 00000000589C: 0B3D3D17
	v_mul_f32_e32 v159, v23, v159                              // 0000000058A0: 0B3F3F17
	v_cvt_i32_f32_e32 v156, v156                               // 0000000058A4: 7F38119C
	v_cvt_i32_f32_e32 v157, v157                               // 0000000058A8: 7F3A119D
	v_cvt_i32_f32_e32 v158, v158                               // 0000000058AC: 7F3C119E
	v_cvt_i32_f32_e32 v159, v159                               // 0000000058B0: 7F3E119F
	v_perm_b32 v135, v157, v156, s53                           // 0000000058B4: D1ED0087 00D7399D
	v_perm_b32 v135, v158, v135, s54                           // 0000000058BC: D1ED0087 00DB0F9E
	v_perm_b32 v135, v159, v135, s55                           // 0000000058C4: D1ED0087 00DF0F9F
	v_mul_f32_e32 v160, v22, v160                              // 0000000058CC: 0B414116
	v_mul_f32_e32 v161, v22, v161                              // 0000000058D0: 0B434316
	v_mul_f32_e32 v162, v22, v162                              // 0000000058D4: 0B454516
	v_mul_f32_e32 v163, v22, v163                              // 0000000058D8: 0B474716
	v_cvt_i32_f32_e32 v160, v160                               // 0000000058DC: 7F4011A0
	v_cvt_i32_f32_e32 v161, v161                               // 0000000058E0: 7F4211A1
	v_cvt_i32_f32_e32 v162, v162                               // 0000000058E4: 7F4411A2
	v_cvt_i32_f32_e32 v163, v163                               // 0000000058E8: 7F4611A3
	v_perm_b32 v136, v161, v160, s53                           // 0000000058EC: D1ED0088 00D741A1
	v_perm_b32 v136, v162, v136, s54                           // 0000000058F4: D1ED0088 00DB11A2
	v_perm_b32 v136, v163, v136, s55                           // 0000000058FC: D1ED0088 00DF11A3
	v_mul_f32_e32 v164, v23, v164                              // 000000005904: 0B494917
	v_mul_f32_e32 v165, v23, v165                              // 000000005908: 0B4B4B17
	v_mul_f32_e32 v166, v23, v166                              // 00000000590C: 0B4D4D17
	v_mul_f32_e32 v167, v23, v167                              // 000000005910: 0B4F4F17
	v_cvt_i32_f32_e32 v164, v164                               // 000000005914: 7F4811A4
	v_cvt_i32_f32_e32 v165, v165                               // 000000005918: 7F4A11A5
	v_cvt_i32_f32_e32 v166, v166                               // 00000000591C: 7F4C11A6
	v_cvt_i32_f32_e32 v167, v167                               // 000000005920: 7F4E11A7
	v_perm_b32 v137, v165, v164, s53                           // 000000005924: D1ED0089 00D749A5
	v_perm_b32 v137, v166, v137, s54                           // 00000000592C: D1ED0089 00DB13A6
	v_perm_b32 v137, v167, v137, s55                           // 000000005934: D1ED0089 00DF13A7
	v_mul_f32_e32 v168, v22, v168                              // 00000000593C: 0B515116
	v_mul_f32_e32 v169, v22, v169                              // 000000005940: 0B535316
	v_mul_f32_e32 v170, v22, v170                              // 000000005944: 0B555516
	v_mul_f32_e32 v171, v22, v171                              // 000000005948: 0B575716
	v_cvt_i32_f32_e32 v168, v168                               // 00000000594C: 7F5011A8
	v_cvt_i32_f32_e32 v169, v169                               // 000000005950: 7F5211A9
	v_cvt_i32_f32_e32 v170, v170                               // 000000005954: 7F5411AA
	v_cvt_i32_f32_e32 v171, v171                               // 000000005958: 7F5611AB
	v_perm_b32 v138, v169, v168, s53                           // 00000000595C: D1ED008A 00D751A9
	v_perm_b32 v138, v170, v138, s54                           // 000000005964: D1ED008A 00DB15AA
	v_perm_b32 v138, v171, v138, s55                           // 00000000596C: D1ED008A 00DF15AB
	v_mul_f32_e32 v172, v23, v172                              // 000000005974: 0B595917
	v_mul_f32_e32 v173, v23, v173                              // 000000005978: 0B5B5B17
	v_mul_f32_e32 v174, v23, v174                              // 00000000597C: 0B5D5D17
	v_mul_f32_e32 v175, v23, v175                              // 000000005980: 0B5F5F17
	v_cvt_i32_f32_e32 v172, v172                               // 000000005984: 7F5811AC
	v_cvt_i32_f32_e32 v173, v173                               // 000000005988: 7F5A11AD
	v_cvt_i32_f32_e32 v174, v174                               // 00000000598C: 7F5C11AE
	v_cvt_i32_f32_e32 v175, v175                               // 000000005990: 7F5E11AF
	v_perm_b32 v139, v173, v172, s53                           // 000000005994: D1ED008B 00D759AD
	v_perm_b32 v139, v174, v139, s54                           // 00000000599C: D1ED008B 00DB17AE
	v_perm_b32 v139, v175, v139, s55                           // 0000000059A4: D1ED008B 00DF17AF
	v_mul_f32_e32 v176, v22, v176                              // 0000000059AC: 0B616116
	v_mul_f32_e32 v177, v22, v177                              // 0000000059B0: 0B636316
	v_mul_f32_e32 v178, v22, v178                              // 0000000059B4: 0B656516
	v_mul_f32_e32 v179, v22, v179                              // 0000000059B8: 0B676716
	v_cvt_i32_f32_e32 v176, v176                               // 0000000059BC: 7F6011B0
	v_cvt_i32_f32_e32 v177, v177                               // 0000000059C0: 7F6211B1
	v_cvt_i32_f32_e32 v178, v178                               // 0000000059C4: 7F6411B2
	v_cvt_i32_f32_e32 v179, v179                               // 0000000059C8: 7F6611B3
	v_perm_b32 v140, v177, v176, s53                           // 0000000059CC: D1ED008C 00D761B1
	v_perm_b32 v140, v178, v140, s54                           // 0000000059D4: D1ED008C 00DB19B2
	v_perm_b32 v140, v179, v140, s55                           // 0000000059DC: D1ED008C 00DF19B3
	v_mul_f32_e32 v180, v23, v180                              // 0000000059E4: 0B696917
	v_mul_f32_e32 v181, v23, v181                              // 0000000059E8: 0B6B6B17
	v_mul_f32_e32 v182, v23, v182                              // 0000000059EC: 0B6D6D17
	v_mul_f32_e32 v183, v23, v183                              // 0000000059F0: 0B6F6F17
	v_cvt_i32_f32_e32 v180, v180                               // 0000000059F4: 7F6811B4
	v_cvt_i32_f32_e32 v181, v181                               // 0000000059F8: 7F6A11B5
	v_cvt_i32_f32_e32 v182, v182                               // 0000000059FC: 7F6C11B6
	v_cvt_i32_f32_e32 v183, v183                               // 000000005A00: 7F6E11B7
	v_perm_b32 v141, v181, v180, s53                           // 000000005A04: D1ED008D 00D769B5
	v_perm_b32 v141, v182, v141, s54                           // 000000005A0C: D1ED008D 00DB1BB6
	v_perm_b32 v141, v183, v141, s55                           // 000000005A14: D1ED008D 00DF1BB7
	v_mul_f32_e32 v184, v22, v184                              // 000000005A1C: 0B717116
	v_mul_f32_e32 v185, v22, v185                              // 000000005A20: 0B737316
	v_mul_f32_e32 v186, v22, v186                              // 000000005A24: 0B757516
	v_mul_f32_e32 v187, v22, v187                              // 000000005A28: 0B777716
	v_cvt_i32_f32_e32 v184, v184                               // 000000005A2C: 7F7011B8
	v_cvt_i32_f32_e32 v185, v185                               // 000000005A30: 7F7211B9
	v_cvt_i32_f32_e32 v186, v186                               // 000000005A34: 7F7411BA
	v_cvt_i32_f32_e32 v187, v187                               // 000000005A38: 7F7611BB
	v_perm_b32 v142, v185, v184, s53                           // 000000005A3C: D1ED008E 00D771B9
	v_perm_b32 v142, v186, v142, s54                           // 000000005A44: D1ED008E 00DB1DBA
	v_perm_b32 v142, v187, v142, s55                           // 000000005A4C: D1ED008E 00DF1DBB
	v_mul_f32_e32 v188, v23, v188                              // 000000005A54: 0B797917
	v_mul_f32_e32 v189, v23, v189                              // 000000005A58: 0B7B7B17
	v_mul_f32_e32 v190, v23, v190                              // 000000005A5C: 0B7D7D17
	v_mul_f32_e32 v191, v23, v191                              // 000000005A60: 0B7F7F17
	v_cvt_i32_f32_e32 v188, v188                               // 000000005A64: 7F7811BC
	v_cvt_i32_f32_e32 v189, v189                               // 000000005A68: 7F7A11BD
	v_cvt_i32_f32_e32 v190, v190                               // 000000005A6C: 7F7C11BE
	v_cvt_i32_f32_e32 v191, v191                               // 000000005A70: 7F7E11BF
	v_perm_b32 v143, v189, v188, s53                           // 000000005A74: D1ED008F 00D779BD
	v_perm_b32 v143, v190, v143, s54                           // 000000005A7C: D1ED008F 00DB1FBE
	v_perm_b32 v143, v191, v143, s55                           // 000000005A84: D1ED008F 00DF1FBF
	v_rcp_f32_e32 v24, v22                                     // 000000005A8C: 7E304516
	v_rcp_f32_e32 v25, v23                                     // 000000005A90: 7E324517
	v_lshrrev_b32_e32 v50, 5, v0                               // 000000005A94: 20640085
	v_lshlrev_b32_e32 v51, 5, v50                              // 000000005A98: 24666485
	v_and_b32_e32 v50, 31, v0                                  // 000000005A9C: 2664009F
	v_lshrrev_b32_e32 v52, 4, v50                              // 000000005AA0: 20686484
	v_add_u32_e32 v51, v52, v51                                // 000000005AA4: 68666734
	v_and_b32_e32 v50, 15, v0                                  // 000000005AA8: 2664008F
	v_lshlrev_b32_e32 v50, 1, v50                              // 000000005AAC: 24646481
	v_add_u32_e32 v51, v50, v51                                // 000000005AB0: 68666732
	v_lshlrev_b32_e32 v50, 2, v51                              // 000000005AB4: 24646682
	s_mul_i32 s60, 0x100, s7                                   // 000000005AB8: 923C07FF 00000100
	v_add_u32_e64 v50, v50, s60                                // 000000005AC0: D1340032 00007932
	ds_write_b32 v50, v128 offset:18688                        // 000000005AC8: D81A4900 00008032
	ds_write_b32 v50, v129 offset:26880                        // 000000005AD0: D81A6900 00008132
	ds_write_b32 v50, v130 offset:19712                        // 000000005AD8: D81A4D00 00008232
	ds_write_b32 v50, v131 offset:27904                        // 000000005AE0: D81A6D00 00008332
	ds_write_b32 v50, v132 offset:20736                        // 000000005AE8: D81A5100 00008432
	ds_write_b32 v50, v133 offset:28928                        // 000000005AF0: D81A7100 00008532
	ds_write_b32 v50, v134 offset:21760                        // 000000005AF8: D81A5500 00008632
	ds_write_b32 v50, v135 offset:29952                        // 000000005B00: D81A7500 00008732
	ds_write_b32 v50, v136 offset:22784                        // 000000005B08: D81A5900 00008832
	ds_write_b32 v50, v137 offset:30976                        // 000000005B10: D81A7900 00008932
	ds_write_b32 v50, v138 offset:23808                        // 000000005B18: D81A5D00 00008A32
	ds_write_b32 v50, v139 offset:32000                        // 000000005B20: D81A7D00 00008B32
	ds_write_b32 v50, v140 offset:24832                        // 000000005B28: D81A6100 00008C32
	ds_write_b32 v50, v141 offset:33024                        // 000000005B30: D81A8100 00008D32
	ds_write_b32 v50, v142 offset:25856                        // 000000005B38: D81A6500 00008E32
	ds_write_b32 v50, v143 offset:34048                        // 000000005B40: D81A8500 00008F32
	s_waitcnt lgkmcnt(0)                                       // 000000005B48: BF8CC07F
	s_barrier                                                  // 000000005B4C: BF8A0000
	v_lshrrev_b32_e32 v50, 4, v0                               // 000000005B50: 20640084
	v_lshlrev_b32_e32 v51, 6, v50                              // 000000005B54: 24666486
	v_and_b32_e32 v50, 15, v0                                  // 000000005B58: 2664008F
	v_lshlrev_b32_e32 v50, 1, v50                              // 000000005B5C: 24646481
	v_add_u32_e32 v51, v50, v51                                // 000000005B60: 68666732
	v_lshlrev_b32_e32 v50, 2, v51                              // 000000005B64: 24646682
	ds_read_b64 v[128:129], v50 offset:18688                   // 000000005B68: D8EC4900 80000032
	ds_read_b64 v[130:131], v50 offset:18816                   // 000000005B70: D8EC4980 82000032
	ds_read_b64 v[132:133], v50 offset:19712                   // 000000005B78: D8EC4D00 84000032
	ds_read_b64 v[134:135], v50 offset:19840                   // 000000005B80: D8EC4D80 86000032
	ds_read_b64 v[136:137], v50 offset:20736                   // 000000005B88: D8EC5100 88000032
	ds_read_b64 v[138:139], v50 offset:20864                   // 000000005B90: D8EC5180 8A000032
	ds_read_b64 v[140:141], v50 offset:21760                   // 000000005B98: D8EC5500 8C000032
	ds_read_b64 v[142:143], v50 offset:21888                   // 000000005BA0: D8EC5580 8E000032
	ds_read_b64 v[144:145], v50 offset:22784                   // 000000005BA8: D8EC5900 90000032
	ds_read_b64 v[146:147], v50 offset:22912                   // 000000005BB0: D8EC5980 92000032
	ds_read_b64 v[148:149], v50 offset:23808                   // 000000005BB8: D8EC5D00 94000032
	ds_read_b64 v[150:151], v50 offset:23936                   // 000000005BC0: D8EC5D80 96000032
	ds_read_b64 v[152:153], v50 offset:24832                   // 000000005BC8: D8EC6100 98000032
	ds_read_b64 v[154:155], v50 offset:24960                   // 000000005BD0: D8EC6180 9A000032
	ds_read_b64 v[156:157], v50 offset:25856                   // 000000005BD8: D8EC6500 9C000032
	ds_read_b64 v[158:159], v50 offset:25984                   // 000000005BE0: D8EC6580 9E000032
	ds_read_b64 v[160:161], v50 offset:26880                   // 000000005BE8: D8EC6900 A0000032
	ds_read_b64 v[162:163], v50 offset:27008                   // 000000005BF0: D8EC6980 A2000032
	ds_read_b64 v[164:165], v50 offset:27904                   // 000000005BF8: D8EC6D00 A4000032
	ds_read_b64 v[166:167], v50 offset:28032                   // 000000005C00: D8EC6D80 A6000032
	ds_read_b64 v[168:169], v50 offset:28928                   // 000000005C08: D8EC7100 A8000032
	ds_read_b64 v[170:171], v50 offset:29056                   // 000000005C10: D8EC7180 AA000032
	ds_read_b64 v[172:173], v50 offset:29952                   // 000000005C18: D8EC7500 AC000032
	ds_read_b64 v[174:175], v50 offset:30080                   // 000000005C20: D8EC7580 AE000032
	ds_read_b64 v[176:177], v50 offset:30976                   // 000000005C28: D8EC7900 B0000032
	ds_read_b64 v[178:179], v50 offset:31104                   // 000000005C30: D8EC7980 B2000032
	ds_read_b64 v[180:181], v50 offset:32000                   // 000000005C38: D8EC7D00 B4000032
	ds_read_b64 v[182:183], v50 offset:32128                   // 000000005C40: D8EC7D80 B6000032
	ds_read_b64 v[184:185], v50 offset:33024                   // 000000005C48: D8EC8100 B8000032
	ds_read_b64 v[186:187], v50 offset:33152                   // 000000005C50: D8EC8180 BA000032
	ds_read_b64 v[188:189], v50 offset:34048                   // 000000005C58: D8EC8500 BC000032
	ds_read_b64 v[190:191], v50 offset:34176                   // 000000005C60: D8EC8580 BE000032
	s_add_u32 s12, s56, s12                                    // 000000005C68: 800C0C38
	s_addc_u32 s13, 0, s13                                     // 000000005C6C: 820D0D80
	s_add_u32 s16, s79, s16                                    // 000000005C70: 8010104F
	s_addc_u32 s17, 0, s17                                     // 000000005C74: 82111180
	s_mov_b32 s80, 0                                           // 000000005C78: BED00080
	s_waitcnt vmcnt(0) expcnt(0) lgkmcnt(0)                    // 000000005C7C: BF8C0000

0000000000005c80 <label_0BA0>:
	s_waitcnt vmcnt(45)                                        // 000000005C80: BF8C8F7D
	s_barrier                                                  // 000000005C84: BF8A0000
	v_mfma_i32_16x16x32_i8 v[192:195], a[0:1], v[128:129], 0   // 000000005C88: D3D700C0 0A030100
	v_mfma_i32_16x16x32_i8 v[192:195], a[2:3], v[130:131], v[192:195]// 000000005C90: D3D700C0 0F030502
	buffer_load_dwordx4 a[128:131], v42, s[12:15], 0 offen     // 000000005C98: E05C1000 8083802A
	v_mfma_i32_16x16x32_i8 v[196:199], a[0:1], v[160:161], 0   // 000000005CA0: D3D700C4 0A034100
	v_mfma_i32_16x16x32_i8 v[196:199], a[2:3], v[162:163], v[196:199]// 000000005CA8: D3D700C4 0F134502
	v_mfma_i32_16x16x32_i8 v[200:203], a[4:5], v[128:129], 0   // 000000005CB0: D3D700C8 0A030104
	v_mfma_i32_16x16x32_i8 v[200:203], a[6:7], v[130:131], v[200:203]// 000000005CB8: D3D700C8 0F230506
	buffer_load_dwordx4 a[132:135], v43, s[12:15], 0 offen     // 000000005CC0: E05C1000 8083842B
	v_mfma_i32_16x16x32_i8 v[204:207], a[4:5], v[160:161], 0   // 000000005CC8: D3D700CC 0A034104
	v_mfma_i32_16x16x32_i8 v[204:207], a[6:7], v[162:163], v[204:207]// 000000005CD0: D3D700CC 0F334506
	v_mfma_i32_16x16x32_i8 v[208:211], a[8:9], v[128:129], 0   // 000000005CD8: D3D700D0 0A030108
	v_mfma_i32_16x16x32_i8 v[208:211], a[10:11], v[130:131], v[208:211]// 000000005CE0: D3D700D0 0F43050A
	buffer_load_dwordx4 a[136:139], v44, s[12:15], 0 offen     // 000000005CE8: E05C1000 8083882C
	v_mfma_i32_16x16x32_i8 v[212:215], a[8:9], v[160:161], 0   // 000000005CF0: D3D700D4 0A034108
	v_mfma_i32_16x16x32_i8 v[212:215], a[10:11], v[162:163], v[212:215]// 000000005CF8: D3D700D4 0F53450A
	v_mfma_i32_16x16x32_i8 v[216:219], a[12:13], v[128:129], 0 // 000000005D00: D3D700D8 0A03010C
	v_mfma_i32_16x16x32_i8 v[216:219], a[14:15], v[130:131], v[216:219]// 000000005D08: D3D700D8 0F63050E
	buffer_load_dwordx4 a[140:143], v45, s[12:15], 0 offen     // 000000005D10: E05C1000 80838C2D
	s_add_u32 s12, s78, s12                                    // 000000005D18: 800C0C4E
	s_addc_u32 s13, 0, s13                                     // 000000005D1C: 820D0D80
	v_mfma_i32_16x16x32_i8 v[220:223], a[12:13], v[160:161], 0 // 000000005D20: D3D700DC 0A03410C
	v_mfma_i32_16x16x32_i8 v[220:223], a[14:15], v[162:163], v[220:223]// 000000005D28: D3D700DC 0F73450E
	s_waitcnt vmcnt(45)                                        // 000000005D30: BF8C8F7D
	v_mfma_i32_16x16x32_i8 v[192:195], a[16:17], v[132:133], v[192:195]// 000000005D34: D3D700C0 0F030910
	v_mfma_i32_16x16x32_i8 v[192:195], a[18:19], v[134:135], v[192:195]// 000000005D3C: D3D700C0 0F030D12
	buffer_load_dwordx4 a[144:147], v42, s[12:15], 0 offen     // 000000005D44: E05C1000 8083902A
	v_mfma_i32_16x16x32_i8 v[196:199], a[16:17], v[164:165], v[196:199]// 000000005D4C: D3D700C4 0F134910
	v_mfma_i32_16x16x32_i8 v[196:199], a[18:19], v[166:167], v[196:199]// 000000005D54: D3D700C4 0F134D12
	v_mfma_i32_16x16x32_i8 v[200:203], a[20:21], v[132:133], v[200:203]// 000000005D5C: D3D700C8 0F230914
	v_mfma_i32_16x16x32_i8 v[200:203], a[22:23], v[134:135], v[200:203]// 000000005D64: D3D700C8 0F230D16
	buffer_load_dwordx4 a[148:151], v43, s[12:15], 0 offen     // 000000005D6C: E05C1000 8083942B
	v_mfma_i32_16x16x32_i8 v[204:207], a[20:21], v[164:165], v[204:207]// 000000005D74: D3D700CC 0F334914
	v_mfma_i32_16x16x32_i8 v[204:207], a[22:23], v[166:167], v[204:207]// 000000005D7C: D3D700CC 0F334D16
	v_mfma_i32_16x16x32_i8 v[208:211], a[24:25], v[132:133], v[208:211]// 000000005D84: D3D700D0 0F430918
	v_mfma_i32_16x16x32_i8 v[208:211], a[26:27], v[134:135], v[208:211]// 000000005D8C: D3D700D0 0F430D1A
	buffer_load_dwordx4 a[152:155], v44, s[12:15], 0 offen     // 000000005D94: E05C1000 8083982C
	v_mfma_i32_16x16x32_i8 v[212:215], a[24:25], v[164:165], v[212:215]// 000000005D9C: D3D700D4 0F534918
	v_mfma_i32_16x16x32_i8 v[212:215], a[26:27], v[166:167], v[212:215]// 000000005DA4: D3D700D4 0F534D1A
	v_mfma_i32_16x16x32_i8 v[216:219], a[28:29], v[132:133], v[216:219]// 000000005DAC: D3D700D8 0F63091C
	v_mfma_i32_16x16x32_i8 v[216:219], a[30:31], v[134:135], v[216:219]// 000000005DB4: D3D700D8 0F630D1E
	buffer_load_dwordx4 a[156:159], v45, s[12:15], 0 offen     // 000000005DBC: E05C1000 80839C2D
	s_add_u32 s12, s78, s12                                    // 000000005DC4: 800C0C4E
	s_addc_u32 s13, 0, s13                                     // 000000005DC8: 820D0D80
	v_mfma_i32_16x16x32_i8 v[220:223], a[28:29], v[164:165], v[220:223]// 000000005DCC: D3D700DC 0F73491C
	v_mfma_i32_16x16x32_i8 v[220:223], a[30:31], v[166:167], v[220:223]// 000000005DD4: D3D700DC 0F734D1E
	s_waitcnt vmcnt(45)                                        // 000000005DDC: BF8C8F7D
	v_mfma_i32_16x16x32_i8 v[192:195], a[32:33], v[136:137], v[192:195]// 000000005DE0: D3D700C0 0F031120
	v_mfma_i32_16x16x32_i8 v[192:195], a[34:35], v[138:139], v[192:195]// 000000005DE8: D3D700C0 0F031522
	buffer_load_dwordx4 a[160:163], v42, s[12:15], 0 offen     // 000000005DF0: E05C1000 8083A02A
	v_mfma_i32_16x16x32_i8 v[196:199], a[32:33], v[168:169], v[196:199]// 000000005DF8: D3D700C4 0F135120
	v_mfma_i32_16x16x32_i8 v[196:199], a[34:35], v[170:171], v[196:199]// 000000005E00: D3D700C4 0F135522
	v_mfma_i32_16x16x32_i8 v[200:203], a[36:37], v[136:137], v[200:203]// 000000005E08: D3D700C8 0F231124
	v_mfma_i32_16x16x32_i8 v[200:203], a[38:39], v[138:139], v[200:203]// 000000005E10: D3D700C8 0F231526
	buffer_load_dwordx4 a[164:167], v43, s[12:15], 0 offen     // 000000005E18: E05C1000 8083A42B
	v_mfma_i32_16x16x32_i8 v[204:207], a[36:37], v[168:169], v[204:207]// 000000005E20: D3D700CC 0F335124
	v_mfma_i32_16x16x32_i8 v[204:207], a[38:39], v[170:171], v[204:207]// 000000005E28: D3D700CC 0F335526
	v_mfma_i32_16x16x32_i8 v[208:211], a[40:41], v[136:137], v[208:211]// 000000005E30: D3D700D0 0F431128
	v_mfma_i32_16x16x32_i8 v[208:211], a[42:43], v[138:139], v[208:211]// 000000005E38: D3D700D0 0F43152A
	buffer_load_dwordx4 a[168:171], v44, s[12:15], 0 offen     // 000000005E40: E05C1000 8083A82C
	v_mfma_i32_16x16x32_i8 v[212:215], a[40:41], v[168:169], v[212:215]// 000000005E48: D3D700D4 0F535128
	v_mfma_i32_16x16x32_i8 v[212:215], a[42:43], v[170:171], v[212:215]// 000000005E50: D3D700D4 0F53552A
	v_mfma_i32_16x16x32_i8 v[216:219], a[44:45], v[136:137], v[216:219]// 000000005E58: D3D700D8 0F63112C
	v_mfma_i32_16x16x32_i8 v[216:219], a[46:47], v[138:139], v[216:219]// 000000005E60: D3D700D8 0F63152E
	buffer_load_dwordx4 a[172:175], v45, s[12:15], 0 offen     // 000000005E68: E05C1000 8083AC2D
	s_add_u32 s12, s78, s12                                    // 000000005E70: 800C0C4E
	s_addc_u32 s13, 0, s13                                     // 000000005E74: 820D0D80
	v_mfma_i32_16x16x32_i8 v[220:223], a[44:45], v[168:169], v[220:223]// 000000005E78: D3D700DC 0F73512C
	v_mfma_i32_16x16x32_i8 v[220:223], a[46:47], v[170:171], v[220:223]// 000000005E80: D3D700DC 0F73552E
	s_waitcnt vmcnt(45)                                        // 000000005E88: BF8C8F7D
	v_mfma_i32_16x16x32_i8 v[192:195], a[48:49], v[140:141], v[192:195]// 000000005E8C: D3D700C0 0F031930
	v_mfma_i32_16x16x32_i8 v[192:195], a[50:51], v[142:143], v[192:195]// 000000005E94: D3D700C0 0F031D32
	buffer_load_dwordx4 a[176:179], v42, s[12:15], 0 offen     // 000000005E9C: E05C1000 8083B02A
	v_mfma_i32_16x16x32_i8 v[196:199], a[48:49], v[172:173], v[196:199]// 000000005EA4: D3D700C4 0F135930
	v_mfma_i32_16x16x32_i8 v[196:199], a[50:51], v[174:175], v[196:199]// 000000005EAC: D3D700C4 0F135D32
	v_mfma_i32_16x16x32_i8 v[200:203], a[52:53], v[140:141], v[200:203]// 000000005EB4: D3D700C8 0F231934
	v_mfma_i32_16x16x32_i8 v[200:203], a[54:55], v[142:143], v[200:203]// 000000005EBC: D3D700C8 0F231D36
	buffer_load_dwordx4 a[180:183], v43, s[12:15], 0 offen     // 000000005EC4: E05C1000 8083B42B
	v_mfma_i32_16x16x32_i8 v[204:207], a[52:53], v[172:173], v[204:207]// 000000005ECC: D3D700CC 0F335934
	v_mfma_i32_16x16x32_i8 v[204:207], a[54:55], v[174:175], v[204:207]// 000000005ED4: D3D700CC 0F335D36
	v_mfma_i32_16x16x32_i8 v[208:211], a[56:57], v[140:141], v[208:211]// 000000005EDC: D3D700D0 0F431938
	v_mfma_i32_16x16x32_i8 v[208:211], a[58:59], v[142:143], v[208:211]// 000000005EE4: D3D700D0 0F431D3A
	buffer_load_dwordx4 a[184:187], v44, s[12:15], 0 offen     // 000000005EEC: E05C1000 8083B82C
	v_mfma_i32_16x16x32_i8 v[212:215], a[56:57], v[172:173], v[212:215]// 000000005EF4: D3D700D4 0F535938
	v_mfma_i32_16x16x32_i8 v[212:215], a[58:59], v[174:175], v[212:215]// 000000005EFC: D3D700D4 0F535D3A
	v_mfma_i32_16x16x32_i8 v[216:219], a[60:61], v[140:141], v[216:219]// 000000005F04: D3D700D8 0F63193C
	v_mfma_i32_16x16x32_i8 v[216:219], a[62:63], v[142:143], v[216:219]// 000000005F0C: D3D700D8 0F631D3E
	buffer_load_dwordx4 a[188:191], v45, s[12:15], 0 offen     // 000000005F14: E05C1000 8083BC2D
	s_add_u32 s12, s78, s12                                    // 000000005F1C: 800C0C4E
	s_addc_u32 s13, 0, s13                                     // 000000005F20: 820D0D80
	v_mfma_i32_16x16x32_i8 v[220:223], a[60:61], v[172:173], v[220:223]// 000000005F24: D3D700DC 0F73593C
	v_mfma_i32_16x16x32_i8 v[220:223], a[62:63], v[174:175], v[220:223]// 000000005F2C: D3D700DC 0F735D3E
	s_waitcnt vmcnt(45)                                        // 000000005F34: BF8C8F7D
	v_mfma_i32_16x16x32_i8 v[192:195], a[64:65], v[144:145], v[192:195]// 000000005F38: D3D700C0 0F032140
	v_mfma_i32_16x16x32_i8 v[192:195], a[66:67], v[146:147], v[192:195]// 000000005F40: D3D700C0 0F032542
	buffer_load_dwordx4 a[192:195], v42, s[12:15], 0 offen     // 000000005F48: E05C1000 8083C02A
	v_mfma_i32_16x16x32_i8 v[196:199], a[64:65], v[176:177], v[196:199]// 000000005F50: D3D700C4 0F136140
	v_mfma_i32_16x16x32_i8 v[196:199], a[66:67], v[178:179], v[196:199]// 000000005F58: D3D700C4 0F136542
	v_mfma_i32_16x16x32_i8 v[200:203], a[68:69], v[144:145], v[200:203]// 000000005F60: D3D700C8 0F232144
	v_mfma_i32_16x16x32_i8 v[200:203], a[70:71], v[146:147], v[200:203]// 000000005F68: D3D700C8 0F232546
	buffer_load_dwordx4 a[196:199], v43, s[12:15], 0 offen     // 000000005F70: E05C1000 8083C42B
	v_mfma_i32_16x16x32_i8 v[204:207], a[68:69], v[176:177], v[204:207]// 000000005F78: D3D700CC 0F336144
	v_mfma_i32_16x16x32_i8 v[204:207], a[70:71], v[178:179], v[204:207]// 000000005F80: D3D700CC 0F336546
	v_mfma_i32_16x16x32_i8 v[208:211], a[72:73], v[144:145], v[208:211]// 000000005F88: D3D700D0 0F432148
	v_mfma_i32_16x16x32_i8 v[208:211], a[74:75], v[146:147], v[208:211]// 000000005F90: D3D700D0 0F43254A
	buffer_load_dwordx4 a[200:203], v44, s[12:15], 0 offen     // 000000005F98: E05C1000 8083C82C
	v_mfma_i32_16x16x32_i8 v[212:215], a[72:73], v[176:177], v[212:215]// 000000005FA0: D3D700D4 0F536148
	v_mfma_i32_16x16x32_i8 v[212:215], a[74:75], v[178:179], v[212:215]// 000000005FA8: D3D700D4 0F53654A
	v_mfma_i32_16x16x32_i8 v[216:219], a[76:77], v[144:145], v[216:219]// 000000005FB0: D3D700D8 0F63214C
	v_mfma_i32_16x16x32_i8 v[216:219], a[78:79], v[146:147], v[216:219]// 000000005FB8: D3D700D8 0F63254E
	buffer_load_dwordx4 a[204:207], v45, s[12:15], 0 offen     // 000000005FC0: E05C1000 8083CC2D
	s_add_u32 s12, s78, s12                                    // 000000005FC8: 800C0C4E
	s_addc_u32 s13, 0, s13                                     // 000000005FCC: 820D0D80
	v_mfma_i32_16x16x32_i8 v[220:223], a[76:77], v[176:177], v[220:223]// 000000005FD0: D3D700DC 0F73614C
	v_mfma_i32_16x16x32_i8 v[220:223], a[78:79], v[178:179], v[220:223]// 000000005FD8: D3D700DC 0F73654E
	s_waitcnt vmcnt(45)                                        // 000000005FE0: BF8C8F7D
	v_mfma_i32_16x16x32_i8 v[192:195], a[80:81], v[148:149], v[192:195]// 000000005FE4: D3D700C0 0F032950
	v_mfma_i32_16x16x32_i8 v[192:195], a[82:83], v[150:151], v[192:195]// 000000005FEC: D3D700C0 0F032D52
	buffer_load_dwordx4 a[208:211], v42, s[12:15], 0 offen     // 000000005FF4: E05C1000 8083D02A
	v_mfma_i32_16x16x32_i8 v[196:199], a[80:81], v[180:181], v[196:199]// 000000005FFC: D3D700C4 0F136950
	v_mfma_i32_16x16x32_i8 v[196:199], a[82:83], v[182:183], v[196:199]// 000000006004: D3D700C4 0F136D52
	v_mfma_i32_16x16x32_i8 v[200:203], a[84:85], v[148:149], v[200:203]// 00000000600C: D3D700C8 0F232954
	v_mfma_i32_16x16x32_i8 v[200:203], a[86:87], v[150:151], v[200:203]// 000000006014: D3D700C8 0F232D56
	buffer_load_dwordx4 a[212:215], v43, s[12:15], 0 offen     // 00000000601C: E05C1000 8083D42B
	v_mfma_i32_16x16x32_i8 v[204:207], a[84:85], v[180:181], v[204:207]// 000000006024: D3D700CC 0F336954
	v_mfma_i32_16x16x32_i8 v[204:207], a[86:87], v[182:183], v[204:207]// 00000000602C: D3D700CC 0F336D56
	v_mfma_i32_16x16x32_i8 v[208:211], a[88:89], v[148:149], v[208:211]// 000000006034: D3D700D0 0F432958
	v_mfma_i32_16x16x32_i8 v[208:211], a[90:91], v[150:151], v[208:211]// 00000000603C: D3D700D0 0F432D5A
	buffer_load_dwordx4 a[216:219], v44, s[12:15], 0 offen     // 000000006044: E05C1000 8083D82C
	v_mfma_i32_16x16x32_i8 v[212:215], a[88:89], v[180:181], v[212:215]// 00000000604C: D3D700D4 0F536958
	v_mfma_i32_16x16x32_i8 v[212:215], a[90:91], v[182:183], v[212:215]// 000000006054: D3D700D4 0F536D5A
	v_mfma_i32_16x16x32_i8 v[216:219], a[92:93], v[148:149], v[216:219]// 00000000605C: D3D700D8 0F63295C
	v_mfma_i32_16x16x32_i8 v[216:219], a[94:95], v[150:151], v[216:219]// 000000006064: D3D700D8 0F632D5E
	buffer_load_dwordx4 a[220:223], v45, s[12:15], 0 offen     // 00000000606C: E05C1000 8083DC2D
	s_add_u32 s12, s78, s12                                    // 000000006074: 800C0C4E
	s_addc_u32 s13, 0, s13                                     // 000000006078: 820D0D80
	v_mfma_i32_16x16x32_i8 v[220:223], a[92:93], v[180:181], v[220:223]// 00000000607C: D3D700DC 0F73695C
	v_mfma_i32_16x16x32_i8 v[220:223], a[94:95], v[182:183], v[220:223]// 000000006084: D3D700DC 0F736D5E
	s_waitcnt vmcnt(45)                                        // 00000000608C: BF8C8F7D
	v_mfma_i32_16x16x32_i8 v[192:195], a[96:97], v[152:153], v[192:195]// 000000006090: D3D700C0 0F033160
	v_mfma_i32_16x16x32_i8 v[192:195], a[98:99], v[154:155], v[192:195]// 000000006098: D3D700C0 0F033562
	buffer_load_dwordx4 a[224:227], v42, s[12:15], 0 offen     // 0000000060A0: E05C1000 8083E02A
	v_mfma_i32_16x16x32_i8 v[196:199], a[96:97], v[184:185], v[196:199]// 0000000060A8: D3D700C4 0F137160
	v_mfma_i32_16x16x32_i8 v[196:199], a[98:99], v[186:187], v[196:199]// 0000000060B0: D3D700C4 0F137562
	v_mfma_i32_16x16x32_i8 v[200:203], a[100:101], v[152:153], v[200:203]// 0000000060B8: D3D700C8 0F233164
	v_mfma_i32_16x16x32_i8 v[200:203], a[102:103], v[154:155], v[200:203]// 0000000060C0: D3D700C8 0F233566
	buffer_load_dwordx4 a[228:231], v43, s[12:15], 0 offen     // 0000000060C8: E05C1000 8083E42B
	v_mfma_i32_16x16x32_i8 v[204:207], a[100:101], v[184:185], v[204:207]// 0000000060D0: D3D700CC 0F337164
	v_mfma_i32_16x16x32_i8 v[204:207], a[102:103], v[186:187], v[204:207]// 0000000060D8: D3D700CC 0F337566
	v_mfma_i32_16x16x32_i8 v[208:211], a[104:105], v[152:153], v[208:211]// 0000000060E0: D3D700D0 0F433168
	v_mfma_i32_16x16x32_i8 v[208:211], a[106:107], v[154:155], v[208:211]// 0000000060E8: D3D700D0 0F43356A
	buffer_load_dwordx4 a[232:235], v44, s[12:15], 0 offen     // 0000000060F0: E05C1000 8083E82C
	v_mfma_i32_16x16x32_i8 v[212:215], a[104:105], v[184:185], v[212:215]// 0000000060F8: D3D700D4 0F537168
	v_mfma_i32_16x16x32_i8 v[212:215], a[106:107], v[186:187], v[212:215]// 000000006100: D3D700D4 0F53756A
	v_mfma_i32_16x16x32_i8 v[216:219], a[108:109], v[152:153], v[216:219]// 000000006108: D3D700D8 0F63316C
	v_mfma_i32_16x16x32_i8 v[216:219], a[110:111], v[154:155], v[216:219]// 000000006110: D3D700D8 0F63356E
	buffer_load_dwordx4 a[236:239], v45, s[12:15], 0 offen     // 000000006118: E05C1000 8083EC2D
	s_add_u32 s12, s78, s12                                    // 000000006120: 800C0C4E
	s_addc_u32 s13, 0, s13                                     // 000000006124: 820D0D80
	v_mfma_i32_16x16x32_i8 v[220:223], a[108:109], v[184:185], v[220:223]// 000000006128: D3D700DC 0F73716C
	v_mfma_i32_16x16x32_i8 v[220:223], a[110:111], v[186:187], v[220:223]// 000000006130: D3D700DC 0F73756E
	s_waitcnt vmcnt(44)                                        // 000000006138: BF8C8F7C
	v_mfma_i32_16x16x32_i8 v[192:195], a[112:113], v[156:157], v[192:195]// 00000000613C: D3D700C0 0F033970
	v_mfma_i32_16x16x32_i8 v[192:195], a[114:115], v[158:159], v[192:195]// 000000006144: D3D700C0 0F033D72
	buffer_load_dwordx4 a[240:243], v42, s[12:15], 0 offen     // 00000000614C: E05C1000 8083F02A
	v_mfma_i32_16x16x32_i8 v[196:199], a[112:113], v[188:189], v[196:199]// 000000006154: D3D700C4 0F137970
	v_mfma_i32_16x16x32_i8 v[196:199], a[114:115], v[190:191], v[196:199]// 00000000615C: D3D700C4 0F137D72
	buffer_load_dword v13, v5, s[16:19], 0 offen               // 000000006164: E0501000 80040D05
	v_mfma_i32_16x16x32_i8 v[200:203], a[116:117], v[156:157], v[200:203]// 00000000616C: D3D700C8 0F233974
	v_mfma_i32_16x16x32_i8 v[200:203], a[118:119], v[158:159], v[200:203]// 000000006174: D3D700C8 0F233D76
	buffer_load_dwordx4 a[244:247], v43, s[12:15], 0 offen     // 00000000617C: E05C1000 8083F42B
	v_mfma_i32_16x16x32_i8 v[204:207], a[116:117], v[188:189], v[204:207]// 000000006184: D3D700CC 0F337974
	v_mfma_i32_16x16x32_i8 v[204:207], a[118:119], v[190:191], v[204:207]// 00000000618C: D3D700CC 0F337D76
	v_mfma_i32_16x16x32_i8 v[208:211], a[120:121], v[156:157], v[208:211]// 000000006194: D3D700D0 0F433978
	v_mfma_i32_16x16x32_i8 v[208:211], a[122:123], v[158:159], v[208:211]// 00000000619C: D3D700D0 0F433D7A
	buffer_load_dwordx4 a[248:251], v44, s[12:15], 0 offen     // 0000000061A4: E05C1000 8083F82C
	v_mfma_i32_16x16x32_i8 v[212:215], a[120:121], v[188:189], v[212:215]// 0000000061AC: D3D700D4 0F537978
	v_mfma_i32_16x16x32_i8 v[212:215], a[122:123], v[190:191], v[212:215]// 0000000061B4: D3D700D4 0F537D7A
	v_mfma_i32_16x16x32_i8 v[216:219], a[124:125], v[156:157], v[216:219]// 0000000061BC: D3D700D8 0F63397C
	v_mfma_i32_16x16x32_i8 v[216:219], a[126:127], v[158:159], v[216:219]// 0000000061C4: D3D700D8 0F633D7E
	buffer_load_dwordx4 a[252:255], v45, s[12:15], 0 offen     // 0000000061CC: E05C1000 8083FC2D
	v_mfma_i32_16x16x32_i8 v[220:223], a[124:125], v[188:189], v[220:223]// 0000000061D4: D3D700DC 0F73797C
	v_mfma_i32_16x16x32_i8 v[220:223], a[126:127], v[190:191], v[220:223]// 0000000061DC: D3D700DC 0F737D7E
	s_add_u32 s60, 0x200, s80                                  // 0000000061E4: 803C50FF 00000200
	s_cmp_lt_u32 s60, s81                                      // 0000000061EC: BF0A513C
	s_cselect_b32 s56, s56, 0                                  // 0000000061F0: 85388038
	s_cselect_b32 s78, s78, 0                                  // 0000000061F4: 854E804E
	s_cselect_b32 s79, s79, 0                                  // 0000000061F8: 854F804F
	s_add_u32 s12, s56, s12                                    // 0000000061FC: 800C0C38
	s_addc_u32 s13, 0, s13                                     // 000000006200: 820D0D80
	s_add_u32 s16, s79, s16                                    // 000000006204: 8010104F
	s_addc_u32 s17, 0, s17                                     // 000000006208: 82111180
	v_cvt_f32_i32_e32 v192, v192                               // 00000000620C: 7F800BC0
	v_cvt_f32_i32_e32 v193, v193                               // 000000006210: 7F820BC1
	v_cvt_f32_i32_e32 v194, v194                               // 000000006214: 7F840BC2
	v_cvt_f32_i32_e32 v195, v195                               // 000000006218: 7F860BC3
	v_mul_f32_e32 v192, v24, v192                              // 00000000621C: 0B818118
	v_mul_f32_e32 v193, v24, v193                              // 000000006220: 0B838318
	v_mul_f32_e32 v194, v24, v194                              // 000000006224: 0B858518
	v_mul_f32_e32 v195, v24, v195                              // 000000006228: 0B878718
	v_mul_f32_dpp v192, v12, v192 row_newbcast:0 row_mask:0xf bank_mask:0xf// 00000000622C: 0B8180FA FF01500C
	v_mul_f32_dpp v193, v12, v193 row_newbcast:1 row_mask:0xf bank_mask:0xf// 000000006234: 0B8382FA FF01510C
	v_mul_f32_dpp v194, v12, v194 row_newbcast:2 row_mask:0xf bank_mask:0xf// 00000000623C: 0B8584FA FF01520C
	v_mul_f32_dpp v195, v12, v195 row_newbcast:3 row_mask:0xf bank_mask:0xf// 000000006244: 0B8786FA FF01530C
	v_mul_f32_e32 v192, v20, v192                              // 00000000624C: 0B818114
	v_mul_f32_e32 v193, v20, v193                              // 000000006250: 0B838314
	v_mul_f32_e32 v194, v20, v194                              // 000000006254: 0B858514
	v_mul_f32_e32 v195, v20, v195                              // 000000006258: 0B878714
	v_cvt_f32_i32_e32 v196, v196                               // 00000000625C: 7F880BC4
	v_cvt_f32_i32_e32 v197, v197                               // 000000006260: 7F8A0BC5
	v_cvt_f32_i32_e32 v198, v198                               // 000000006264: 7F8C0BC6
	v_cvt_f32_i32_e32 v199, v199                               // 000000006268: 7F8E0BC7
	v_mul_f32_e32 v196, v25, v196                              // 00000000626C: 0B898919
	v_mul_f32_e32 v197, v25, v197                              // 000000006270: 0B8B8B19
	v_mul_f32_e32 v198, v25, v198                              // 000000006274: 0B8D8D19
	v_mul_f32_e32 v199, v25, v199                              // 000000006278: 0B8F8F19
	v_mul_f32_dpp v196, v12, v196 row_newbcast:0 row_mask:0xf bank_mask:0xf// 00000000627C: 0B8988FA FF01500C
	v_mul_f32_dpp v197, v12, v197 row_newbcast:1 row_mask:0xf bank_mask:0xf// 000000006284: 0B8B8AFA FF01510C
	v_mul_f32_dpp v198, v12, v198 row_newbcast:2 row_mask:0xf bank_mask:0xf// 00000000628C: 0B8D8CFA FF01520C
	v_mul_f32_dpp v199, v12, v199 row_newbcast:3 row_mask:0xf bank_mask:0xf// 000000006294: 0B8F8EFA FF01530C
	v_mul_f32_e32 v196, v21, v196                              // 00000000629C: 0B898915
	v_mul_f32_e32 v197, v21, v197                              // 0000000062A0: 0B8B8B15
	v_mul_f32_e32 v198, v21, v198                              // 0000000062A4: 0B8D8D15
	v_mul_f32_e32 v199, v21, v199                              // 0000000062A8: 0B8F8F15
	v_cvt_f32_i32_e32 v200, v200                               // 0000000062AC: 7F900BC8
	v_cvt_f32_i32_e32 v201, v201                               // 0000000062B0: 7F920BC9
	v_cvt_f32_i32_e32 v202, v202                               // 0000000062B4: 7F940BCA
	v_cvt_f32_i32_e32 v203, v203                               // 0000000062B8: 7F960BCB
	v_mul_f32_e32 v200, v24, v200                              // 0000000062BC: 0B919118
	v_mul_f32_e32 v201, v24, v201                              // 0000000062C0: 0B939318
	v_mul_f32_e32 v202, v24, v202                              // 0000000062C4: 0B959518
	v_mul_f32_e32 v203, v24, v203                              // 0000000062C8: 0B979718
	v_mul_f32_dpp v200, v12, v200 row_newbcast:4 row_mask:0xf bank_mask:0xf// 0000000062CC: 0B9190FA FF01540C
	v_mul_f32_dpp v201, v12, v201 row_newbcast:5 row_mask:0xf bank_mask:0xf// 0000000062D4: 0B9392FA FF01550C
	v_mul_f32_dpp v202, v12, v202 row_newbcast:6 row_mask:0xf bank_mask:0xf// 0000000062DC: 0B9594FA FF01560C
	v_mul_f32_dpp v203, v12, v203 row_newbcast:7 row_mask:0xf bank_mask:0xf// 0000000062E4: 0B9796FA FF01570C
	v_mul_f32_e32 v200, v20, v200                              // 0000000062EC: 0B919114
	v_mul_f32_e32 v201, v20, v201                              // 0000000062F0: 0B939314
	v_mul_f32_e32 v202, v20, v202                              // 0000000062F4: 0B959514
	v_mul_f32_e32 v203, v20, v203                              // 0000000062F8: 0B979714
	v_cvt_f32_i32_e32 v204, v204                               // 0000000062FC: 7F980BCC
	v_cvt_f32_i32_e32 v205, v205                               // 000000006300: 7F9A0BCD
	v_cvt_f32_i32_e32 v206, v206                               // 000000006304: 7F9C0BCE
	v_cvt_f32_i32_e32 v207, v207                               // 000000006308: 7F9E0BCF
	v_mul_f32_e32 v204, v25, v204                              // 00000000630C: 0B999919
	v_mul_f32_e32 v205, v25, v205                              // 000000006310: 0B9B9B19
	v_mul_f32_e32 v206, v25, v206                              // 000000006314: 0B9D9D19
	v_mul_f32_e32 v207, v25, v207                              // 000000006318: 0B9F9F19
	v_mul_f32_dpp v204, v12, v204 row_newbcast:4 row_mask:0xf bank_mask:0xf// 00000000631C: 0B9998FA FF01540C
	v_mul_f32_dpp v205, v12, v205 row_newbcast:5 row_mask:0xf bank_mask:0xf// 000000006324: 0B9B9AFA FF01550C
	v_mul_f32_dpp v206, v12, v206 row_newbcast:6 row_mask:0xf bank_mask:0xf// 00000000632C: 0B9D9CFA FF01560C
	v_mul_f32_dpp v207, v12, v207 row_newbcast:7 row_mask:0xf bank_mask:0xf// 000000006334: 0B9F9EFA FF01570C
	v_mul_f32_e32 v204, v21, v204                              // 00000000633C: 0B999915
	v_mul_f32_e32 v205, v21, v205                              // 000000006340: 0B9B9B15
	v_mul_f32_e32 v206, v21, v206                              // 000000006344: 0B9D9D15
	v_mul_f32_e32 v207, v21, v207                              // 000000006348: 0B9F9F15
	v_cvt_f32_i32_e32 v208, v208                               // 00000000634C: 7FA00BD0
	v_cvt_f32_i32_e32 v209, v209                               // 000000006350: 7FA20BD1
	v_cvt_f32_i32_e32 v210, v210                               // 000000006354: 7FA40BD2
	v_cvt_f32_i32_e32 v211, v211                               // 000000006358: 7FA60BD3
	v_mul_f32_e32 v208, v24, v208                              // 00000000635C: 0BA1A118
	v_mul_f32_e32 v209, v24, v209                              // 000000006360: 0BA3A318
	v_mul_f32_e32 v210, v24, v210                              // 000000006364: 0BA5A518
	v_mul_f32_e32 v211, v24, v211                              // 000000006368: 0BA7A718
	v_mul_f32_dpp v208, v12, v208 row_newbcast:8 row_mask:0xf bank_mask:0xf// 00000000636C: 0BA1A0FA FF01580C
	v_mul_f32_dpp v209, v12, v209 row_newbcast:9 row_mask:0xf bank_mask:0xf// 000000006374: 0BA3A2FA FF01590C
	v_mul_f32_dpp v210, v12, v210 row_newbcast:10 row_mask:0xf bank_mask:0xf// 00000000637C: 0BA5A4FA FF015A0C
	v_mul_f32_dpp v211, v12, v211 row_newbcast:11 row_mask:0xf bank_mask:0xf// 000000006384: 0BA7A6FA FF015B0C
	v_mul_f32_e32 v208, v20, v208                              // 00000000638C: 0BA1A114
	v_mul_f32_e32 v209, v20, v209                              // 000000006390: 0BA3A314
	v_mul_f32_e32 v210, v20, v210                              // 000000006394: 0BA5A514
	v_mul_f32_e32 v211, v20, v211                              // 000000006398: 0BA7A714
	v_cvt_f32_i32_e32 v212, v212                               // 00000000639C: 7FA80BD4
	v_cvt_f32_i32_e32 v213, v213                               // 0000000063A0: 7FAA0BD5
	v_cvt_f32_i32_e32 v214, v214                               // 0000000063A4: 7FAC0BD6
	v_cvt_f32_i32_e32 v215, v215                               // 0000000063A8: 7FAE0BD7
	v_mul_f32_e32 v212, v25, v212                              // 0000000063AC: 0BA9A919
	v_mul_f32_e32 v213, v25, v213                              // 0000000063B0: 0BABAB19
	v_mul_f32_e32 v214, v25, v214                              // 0000000063B4: 0BADAD19
	v_mul_f32_e32 v215, v25, v215                              // 0000000063B8: 0BAFAF19
	v_mul_f32_dpp v212, v12, v212 row_newbcast:8 row_mask:0xf bank_mask:0xf// 0000000063BC: 0BA9A8FA FF01580C
	v_mul_f32_dpp v213, v12, v213 row_newbcast:9 row_mask:0xf bank_mask:0xf// 0000000063C4: 0BABAAFA FF01590C
	v_mul_f32_dpp v214, v12, v214 row_newbcast:10 row_mask:0xf bank_mask:0xf// 0000000063CC: 0BADACFA FF015A0C
	v_mul_f32_dpp v215, v12, v215 row_newbcast:11 row_mask:0xf bank_mask:0xf// 0000000063D4: 0BAFAEFA FF015B0C
	v_mul_f32_e32 v212, v21, v212                              // 0000000063DC: 0BA9A915
	v_mul_f32_e32 v213, v21, v213                              // 0000000063E0: 0BABAB15
	v_mul_f32_e32 v214, v21, v214                              // 0000000063E4: 0BADAD15
	v_mul_f32_e32 v215, v21, v215                              // 0000000063E8: 0BAFAF15
	v_cvt_f32_i32_e32 v216, v216                               // 0000000063EC: 7FB00BD8
	v_cvt_f32_i32_e32 v217, v217                               // 0000000063F0: 7FB20BD9
	v_cvt_f32_i32_e32 v218, v218                               // 0000000063F4: 7FB40BDA
	v_cvt_f32_i32_e32 v219, v219                               // 0000000063F8: 7FB60BDB
	v_mul_f32_e32 v216, v24, v216                              // 0000000063FC: 0BB1B118
	v_mul_f32_e32 v217, v24, v217                              // 000000006400: 0BB3B318
	v_mul_f32_e32 v218, v24, v218                              // 000000006404: 0BB5B518
	v_mul_f32_e32 v219, v24, v219                              // 000000006408: 0BB7B718
	v_mul_f32_dpp v216, v12, v216 row_newbcast:12 row_mask:0xf bank_mask:0xf// 00000000640C: 0BB1B0FA FF015C0C
	v_mul_f32_dpp v217, v12, v217 row_newbcast:13 row_mask:0xf bank_mask:0xf// 000000006414: 0BB3B2FA FF015D0C
	v_mul_f32_dpp v218, v12, v218 row_newbcast:14 row_mask:0xf bank_mask:0xf// 00000000641C: 0BB5B4FA FF015E0C
	v_mul_f32_dpp v219, v12, v219 row_newbcast:15 row_mask:0xf bank_mask:0xf// 000000006424: 0BB7B6FA FF015F0C
	v_mul_f32_e32 v216, v20, v216                              // 00000000642C: 0BB1B114
	v_mul_f32_e32 v217, v20, v217                              // 000000006430: 0BB3B314
	v_mul_f32_e32 v218, v20, v218                              // 000000006434: 0BB5B514
	v_mul_f32_e32 v219, v20, v219                              // 000000006438: 0BB7B714
	v_cvt_f32_i32_e32 v220, v220                               // 00000000643C: 7FB80BDC
	v_cvt_f32_i32_e32 v221, v221                               // 000000006440: 7FBA0BDD
	v_cvt_f32_i32_e32 v222, v222                               // 000000006444: 7FBC0BDE
	v_cvt_f32_i32_e32 v223, v223                               // 000000006448: 7FBE0BDF
	v_mul_f32_e32 v220, v25, v220                              // 00000000644C: 0BB9B919
	v_mul_f32_e32 v221, v25, v221                              // 000000006450: 0BBBBB19
	v_mul_f32_e32 v222, v25, v222                              // 000000006454: 0BBDBD19
	v_mul_f32_e32 v223, v25, v223                              // 000000006458: 0BBFBF19
	v_mul_f32_dpp v220, v12, v220 row_newbcast:12 row_mask:0xf bank_mask:0xf// 00000000645C: 0BB9B8FA FF015C0C
	v_mul_f32_dpp v221, v12, v221 row_newbcast:13 row_mask:0xf bank_mask:0xf// 000000006464: 0BBBBAFA FF015D0C
	v_mul_f32_dpp v222, v12, v222 row_newbcast:14 row_mask:0xf bank_mask:0xf// 00000000646C: 0BBDBCFA FF015E0C
	v_mul_f32_dpp v223, v12, v223 row_newbcast:15 row_mask:0xf bank_mask:0xf// 000000006474: 0BBFBEFA FF015F0C
	v_mul_f32_e32 v220, v21, v220                              // 00000000647C: 0BB9B915
	v_mul_f32_e32 v221, v21, v221                              // 000000006480: 0BBBBB15
	v_mul_f32_e32 v222, v21, v222                              // 000000006484: 0BBDBD15
	v_mul_f32_e32 v223, v21, v223                              // 000000006488: 0BBFBF15
	v_cvt_pkrtz_f16_f32 v192, v192, v193                       // 00000000648C: D29600C0 000383C0
	v_cvt_pkrtz_f16_f32 v193, v194, v195                       // 000000006494: D29600C1 000387C2
	v_cvt_pkrtz_f16_f32 v194, v196, v197                       // 00000000649C: D29600C2 00038BC4
	v_cvt_pkrtz_f16_f32 v195, v198, v199                       // 0000000064A4: D29600C3 00038FC6
	v_cvt_pkrtz_f16_f32 v196, v200, v201                       // 0000000064AC: D29600C4 000393C8
	v_cvt_pkrtz_f16_f32 v197, v202, v203                       // 0000000064B4: D29600C5 000397CA
	v_cvt_pkrtz_f16_f32 v198, v204, v205                       // 0000000064BC: D29600C6 00039BCC
	v_cvt_pkrtz_f16_f32 v199, v206, v207                       // 0000000064C4: D29600C7 00039FCE
	v_cvt_pkrtz_f16_f32 v200, v208, v209                       // 0000000064CC: D29600C8 0003A3D0
	v_cvt_pkrtz_f16_f32 v201, v210, v211                       // 0000000064D4: D29600C9 0003A7D2
	v_cvt_pkrtz_f16_f32 v202, v212, v213                       // 0000000064DC: D29600CA 0003ABD4
	v_cvt_pkrtz_f16_f32 v203, v214, v215                       // 0000000064E4: D29600CB 0003AFD6
	v_cvt_pkrtz_f16_f32 v204, v216, v217                       // 0000000064EC: D29600CC 0003B3D8
	v_cvt_pkrtz_f16_f32 v205, v218, v219                       // 0000000064F4: D29600CD 0003B7DA
	v_cvt_pkrtz_f16_f32 v206, v220, v221                       // 0000000064FC: D29600CE 0003BBDC
	v_cvt_pkrtz_f16_f32 v207, v222, v223                       // 000000006504: D29600CF 0003BFDE
	ds_write_b64 v3, v[192:193] offset:35072                   // 00000000650C: D89A8900 0000C003
	ds_write_b64 v3, v[194:195] offset:43776                   // 000000006514: D89AAB00 0000C203
	ds_write_b64 v3, v[196:197] offset:37248                   // 00000000651C: D89A9180 0000C403
	ds_write_b64 v3, v[198:199] offset:45952                   // 000000006524: D89AB380 0000C603
	ds_write_b64 v3, v[200:201] offset:39424                   // 00000000652C: D89A9A00 0000C803
	ds_write_b64 v3, v[202:203] offset:48128                   // 000000006534: D89ABC00 0000CA03
	ds_write_b64 v3, v[204:205] offset:41600                   // 00000000653C: D89AA280 0000CC03
	ds_write_b64 v3, v[206:207] offset:50304                   // 000000006544: D89AC480 0000CE03
	s_waitcnt lgkmcnt(0)                                       // 00000000654C: BF8CC07F
	s_barrier                                                  // 000000006550: BF8A0000
	ds_read_b32 v64, v4 offset:35072                           // 000000006554: D86C8900 40000004
	ds_read_b32 v65, v4 offset:39424                           // 00000000655C: D86C9A00 41000004
	ds_read_b32 v66, v4 offset:35104                           // 000000006564: D86C8920 42000004
	ds_read_b32 v67, v4 offset:39456                           // 00000000656C: D86C9A20 43000004
	ds_read_b32 v68, v4 offset:35136                           // 000000006574: D86C8940 44000004
	ds_read_b32 v69, v4 offset:39488                           // 00000000657C: D86C9A40 45000004
	ds_read_b32 v70, v4 offset:35168                           // 000000006584: D86C8960 46000004
	ds_read_b32 v71, v4 offset:39520                           // 00000000658C: D86C9A60 47000004
	ds_read_b32 v72, v4 offset:43776                           // 000000006594: D86CAB00 48000004
	ds_read_b32 v73, v4 offset:48128                           // 00000000659C: D86CBC00 49000004
	ds_read_b32 v74, v4 offset:43808                           // 0000000065A4: D86CAB20 4A000004
	ds_read_b32 v75, v4 offset:48160                           // 0000000065AC: D86CBC20 4B000004
	ds_read_b32 v76, v4 offset:43840                           // 0000000065B4: D86CAB40 4C000004
	ds_read_b32 v77, v4 offset:48192                           // 0000000065BC: D86CBC40 4D000004
	ds_read_b32 v78, v4 offset:43872                           // 0000000065C4: D86CAB60 4E000004
	ds_read_b32 v79, v4 offset:48224                           // 0000000065CC: D86CBC60 4F000004
	s_waitcnt lgkmcnt(0)                                       // 0000000065D4: BF8CC07F
	s_mov_b64 exec, s[20:21]                                   // 0000000065D8: BEFE0114
	global_atomic_pk_add_f16 v80, v64, s[8:9]                  // 0000000065DC: DD388000 00084050
	s_mov_b64 exec, s[36:37]                                   // 0000000065E4: BEFE0124
	s_mov_b64 exec, s[20:21]                                   // 0000000065E8: BEFE0114
	global_atomic_pk_add_f16 v80, v65, s[8:9] offset:256       // 0000000065EC: DD388100 00084150
	s_mov_b64 exec, s[36:37]                                   // 0000000065F4: BEFE0124
	s_mov_b64 exec, s[22:23]                                   // 0000000065F8: BEFE0116
	global_atomic_pk_add_f16 v82, v66, s[8:9]                  // 0000000065FC: DD388000 00084252
	s_mov_b64 exec, s[36:37]                                   // 000000006604: BEFE0124
	s_mov_b64 exec, s[22:23]                                   // 000000006608: BEFE0116
	global_atomic_pk_add_f16 v82, v67, s[8:9] offset:256       // 00000000660C: DD388100 00084352
	s_mov_b64 exec, s[36:37]                                   // 000000006614: BEFE0124
	s_mov_b64 exec, s[24:25]                                   // 000000006618: BEFE0118
	global_atomic_pk_add_f16 v84, v68, s[8:9]                  // 00000000661C: DD388000 00084454
	s_mov_b64 exec, s[36:37]                                   // 000000006624: BEFE0124
	s_mov_b64 exec, s[24:25]                                   // 000000006628: BEFE0118
	global_atomic_pk_add_f16 v84, v69, s[8:9] offset:256       // 00000000662C: DD388100 00084554
	s_mov_b64 exec, s[36:37]                                   // 000000006634: BEFE0124
	s_mov_b64 exec, s[26:27]                                   // 000000006638: BEFE011A
	global_atomic_pk_add_f16 v86, v70, s[8:9]                  // 00000000663C: DD388000 00084656
	s_mov_b64 exec, s[36:37]                                   // 000000006644: BEFE0124
	s_mov_b64 exec, s[26:27]                                   // 000000006648: BEFE011A
	global_atomic_pk_add_f16 v86, v71, s[8:9] offset:256       // 00000000664C: DD388100 00084756
	s_mov_b64 exec, s[36:37]                                   // 000000006654: BEFE0124
	s_mov_b64 exec, s[28:29]                                   // 000000006658: BEFE011C
	global_atomic_pk_add_f16 v88, v72, s[8:9]                  // 00000000665C: DD388000 00084858
	s_mov_b64 exec, s[36:37]                                   // 000000006664: BEFE0124
	s_mov_b64 exec, s[28:29]                                   // 000000006668: BEFE011C
	global_atomic_pk_add_f16 v88, v73, s[8:9] offset:256       // 00000000666C: DD388100 00084958
	s_mov_b64 exec, s[36:37]                                   // 000000006674: BEFE0124
	s_mov_b64 exec, s[30:31]                                   // 000000006678: BEFE011E
	global_atomic_pk_add_f16 v90, v74, s[8:9]                  // 00000000667C: DD388000 00084A5A
	s_mov_b64 exec, s[36:37]                                   // 000000006684: BEFE0124
	s_mov_b64 exec, s[30:31]                                   // 000000006688: BEFE011E
	global_atomic_pk_add_f16 v90, v75, s[8:9] offset:256       // 00000000668C: DD388100 00084B5A
	s_mov_b64 exec, s[36:37]                                   // 000000006694: BEFE0124
	s_mov_b64 exec, s[32:33]                                   // 000000006698: BEFE0120
	global_atomic_pk_add_f16 v92, v76, s[8:9]                  // 00000000669C: DD388000 00084C5C
	s_mov_b64 exec, s[36:37]                                   // 0000000066A4: BEFE0124
	s_mov_b64 exec, s[32:33]                                   // 0000000066A8: BEFE0120
	global_atomic_pk_add_f16 v92, v77, s[8:9] offset:256       // 0000000066AC: DD388100 00084D5C
	s_mov_b64 exec, s[36:37]                                   // 0000000066B4: BEFE0124
	s_mov_b64 exec, s[34:35]                                   // 0000000066B8: BEFE0122
	global_atomic_pk_add_f16 v94, v78, s[8:9]                  // 0000000066BC: DD388000 00084E5E
	s_mov_b64 exec, s[36:37]                                   // 0000000066C4: BEFE0124
	s_mov_b64 exec, s[34:35]                                   // 0000000066C8: BEFE0122
	global_atomic_pk_add_f16 v94, v79, s[8:9] offset:256       // 0000000066CC: DD388100 00084F5E
	s_mov_b64 exec, s[36:37]                                   // 0000000066D4: BEFE0124
	s_add_u32 s8, s59, s8                                      // 0000000066D8: 8008083B
	s_addc_u32 s9, 0, s9                                       // 0000000066DC: 82090980
	s_addk_i32 s80, 0x100                                      // 0000000066E0: B7500100
	s_cmp_lt_i32 s80, s81                                      // 0000000066E4: BF045150
	s_cbranch_scc0 label_10D7                                  // 0000000066E8: BF84029C
	s_waitcnt vmcnt(45)                                        // 0000000066EC: BF8C8F7D
	s_barrier                                                  // 0000000066F0: BF8A0000
	v_mfma_i32_16x16x32_i8 v[224:227], a[128:129], v[128:129], 0// 0000000066F4: D3D700E0 0A030180
	v_mfma_i32_16x16x32_i8 v[224:227], a[130:131], v[130:131], v[224:227]// 0000000066FC: D3D700E0 0F830582
	buffer_load_dwordx4 a[0:3], v42, s[12:15], 0 offen         // 000000006704: E05C1000 8083002A
	v_mfma_i32_16x16x32_i8 v[228:231], a[128:129], v[160:161], 0// 00000000670C: D3D700E4 0A034180
	v_mfma_i32_16x16x32_i8 v[228:231], a[130:131], v[162:163], v[228:231]// 000000006714: D3D700E4 0F934582
	v_mfma_i32_16x16x32_i8 v[232:235], a[132:133], v[128:129], 0// 00000000671C: D3D700E8 0A030184
	v_mfma_i32_16x16x32_i8 v[232:235], a[134:135], v[130:131], v[232:235]// 000000006724: D3D700E8 0FA30586
	buffer_load_dwordx4 a[4:7], v43, s[12:15], 0 offen         // 00000000672C: E05C1000 8083042B
	v_mfma_i32_16x16x32_i8 v[236:239], a[132:133], v[160:161], 0// 000000006734: D3D700EC 0A034184
	v_mfma_i32_16x16x32_i8 v[236:239], a[134:135], v[162:163], v[236:239]// 00000000673C: D3D700EC 0FB34586
	v_mfma_i32_16x16x32_i8 v[240:243], a[136:137], v[128:129], 0// 000000006744: D3D700F0 0A030188
	v_mfma_i32_16x16x32_i8 v[240:243], a[138:139], v[130:131], v[240:243]// 00000000674C: D3D700F0 0FC3058A
	buffer_load_dwordx4 a[8:11], v44, s[12:15], 0 offen        // 000000006754: E05C1000 8083082C
	v_mfma_i32_16x16x32_i8 v[244:247], a[136:137], v[160:161], 0// 00000000675C: D3D700F4 0A034188
	v_mfma_i32_16x16x32_i8 v[244:247], a[138:139], v[162:163], v[244:247]// 000000006764: D3D700F4 0FD3458A
	v_mfma_i32_16x16x32_i8 v[248:251], a[140:141], v[128:129], 0// 00000000676C: D3D700F8 0A03018C
	v_mfma_i32_16x16x32_i8 v[248:251], a[142:143], v[130:131], v[248:251]// 000000006774: D3D700F8 0FE3058E
	buffer_load_dwordx4 a[12:15], v45, s[12:15], 0 offen       // 00000000677C: E05C1000 80830C2D
	s_add_u32 s12, s78, s12                                    // 000000006784: 800C0C4E
	s_addc_u32 s13, 0, s13                                     // 000000006788: 820D0D80
	v_mfma_i32_16x16x32_i8 v[252:255], a[140:141], v[160:161], 0// 00000000678C: D3D700FC 0A03418C
	v_mfma_i32_16x16x32_i8 v[252:255], a[142:143], v[162:163], v[252:255]// 000000006794: D3D700FC 0FF3458E
	s_waitcnt vmcnt(45)                                        // 00000000679C: BF8C8F7D
	v_mfma_i32_16x16x32_i8 v[224:227], a[144:145], v[132:133], v[224:227]// 0000000067A0: D3D700E0 0F830990
	v_mfma_i32_16x16x32_i8 v[224:227], a[146:147], v[134:135], v[224:227]// 0000000067A8: D3D700E0 0F830D92
	buffer_load_dwordx4 a[16:19], v42, s[12:15], 0 offen       // 0000000067B0: E05C1000 8083102A
	v_mfma_i32_16x16x32_i8 v[228:231], a[144:145], v[164:165], v[228:231]// 0000000067B8: D3D700E4 0F934990
	v_mfma_i32_16x16x32_i8 v[228:231], a[146:147], v[166:167], v[228:231]// 0000000067C0: D3D700E4 0F934D92
	v_mfma_i32_16x16x32_i8 v[232:235], a[148:149], v[132:133], v[232:235]// 0000000067C8: D3D700E8 0FA30994
	v_mfma_i32_16x16x32_i8 v[232:235], a[150:151], v[134:135], v[232:235]// 0000000067D0: D3D700E8 0FA30D96
	buffer_load_dwordx4 a[20:23], v43, s[12:15], 0 offen       // 0000000067D8: E05C1000 8083142B
	v_mfma_i32_16x16x32_i8 v[236:239], a[148:149], v[164:165], v[236:239]// 0000000067E0: D3D700EC 0FB34994
	v_mfma_i32_16x16x32_i8 v[236:239], a[150:151], v[166:167], v[236:239]// 0000000067E8: D3D700EC 0FB34D96
	v_mfma_i32_16x16x32_i8 v[240:243], a[152:153], v[132:133], v[240:243]// 0000000067F0: D3D700F0 0FC30998
	v_mfma_i32_16x16x32_i8 v[240:243], a[154:155], v[134:135], v[240:243]// 0000000067F8: D3D700F0 0FC30D9A
	buffer_load_dwordx4 a[24:27], v44, s[12:15], 0 offen       // 000000006800: E05C1000 8083182C
	v_mfma_i32_16x16x32_i8 v[244:247], a[152:153], v[164:165], v[244:247]// 000000006808: D3D700F4 0FD34998
	v_mfma_i32_16x16x32_i8 v[244:247], a[154:155], v[166:167], v[244:247]// 000000006810: D3D700F4 0FD34D9A
	v_mfma_i32_16x16x32_i8 v[248:251], a[156:157], v[132:133], v[248:251]// 000000006818: D3D700F8 0FE3099C
	v_mfma_i32_16x16x32_i8 v[248:251], a[158:159], v[134:135], v[248:251]// 000000006820: D3D700F8 0FE30D9E
	buffer_load_dwordx4 a[28:31], v45, s[12:15], 0 offen       // 000000006828: E05C1000 80831C2D
	s_add_u32 s12, s78, s12                                    // 000000006830: 800C0C4E
	s_addc_u32 s13, 0, s13                                     // 000000006834: 820D0D80
	v_mfma_i32_16x16x32_i8 v[252:255], a[156:157], v[164:165], v[252:255]// 000000006838: D3D700FC 0FF3499C
	v_mfma_i32_16x16x32_i8 v[252:255], a[158:159], v[166:167], v[252:255]// 000000006840: D3D700FC 0FF34D9E
	s_waitcnt vmcnt(45)                                        // 000000006848: BF8C8F7D
	v_mfma_i32_16x16x32_i8 v[224:227], a[160:161], v[136:137], v[224:227]// 00000000684C: D3D700E0 0F8311A0
	v_mfma_i32_16x16x32_i8 v[224:227], a[162:163], v[138:139], v[224:227]// 000000006854: D3D700E0 0F8315A2
	buffer_load_dwordx4 a[32:35], v42, s[12:15], 0 offen       // 00000000685C: E05C1000 8083202A
	v_mfma_i32_16x16x32_i8 v[228:231], a[160:161], v[168:169], v[228:231]// 000000006864: D3D700E4 0F9351A0
	v_mfma_i32_16x16x32_i8 v[228:231], a[162:163], v[170:171], v[228:231]// 00000000686C: D3D700E4 0F9355A2
	v_mfma_i32_16x16x32_i8 v[232:235], a[164:165], v[136:137], v[232:235]// 000000006874: D3D700E8 0FA311A4
	v_mfma_i32_16x16x32_i8 v[232:235], a[166:167], v[138:139], v[232:235]// 00000000687C: D3D700E8 0FA315A6
	buffer_load_dwordx4 a[36:39], v43, s[12:15], 0 offen       // 000000006884: E05C1000 8083242B
	v_mfma_i32_16x16x32_i8 v[236:239], a[164:165], v[168:169], v[236:239]// 00000000688C: D3D700EC 0FB351A4
	v_mfma_i32_16x16x32_i8 v[236:239], a[166:167], v[170:171], v[236:239]// 000000006894: D3D700EC 0FB355A6
	v_mfma_i32_16x16x32_i8 v[240:243], a[168:169], v[136:137], v[240:243]// 00000000689C: D3D700F0 0FC311A8
	v_mfma_i32_16x16x32_i8 v[240:243], a[170:171], v[138:139], v[240:243]// 0000000068A4: D3D700F0 0FC315AA
	buffer_load_dwordx4 a[40:43], v44, s[12:15], 0 offen       // 0000000068AC: E05C1000 8083282C
	v_mfma_i32_16x16x32_i8 v[244:247], a[168:169], v[168:169], v[244:247]// 0000000068B4: D3D700F4 0FD351A8
	v_mfma_i32_16x16x32_i8 v[244:247], a[170:171], v[170:171], v[244:247]// 0000000068BC: D3D700F4 0FD355AA
	v_mfma_i32_16x16x32_i8 v[248:251], a[172:173], v[136:137], v[248:251]// 0000000068C4: D3D700F8 0FE311AC
	v_mfma_i32_16x16x32_i8 v[248:251], a[174:175], v[138:139], v[248:251]// 0000000068CC: D3D700F8 0FE315AE
	buffer_load_dwordx4 a[44:47], v45, s[12:15], 0 offen       // 0000000068D4: E05C1000 80832C2D
	s_add_u32 s12, s78, s12                                    // 0000000068DC: 800C0C4E
	s_addc_u32 s13, 0, s13                                     // 0000000068E0: 820D0D80
	v_mfma_i32_16x16x32_i8 v[252:255], a[172:173], v[168:169], v[252:255]// 0000000068E4: D3D700FC 0FF351AC
	v_mfma_i32_16x16x32_i8 v[252:255], a[174:175], v[170:171], v[252:255]// 0000000068EC: D3D700FC 0FF355AE
	s_waitcnt vmcnt(45)                                        // 0000000068F4: BF8C8F7D
	v_mfma_i32_16x16x32_i8 v[224:227], a[176:177], v[140:141], v[224:227]// 0000000068F8: D3D700E0 0F8319B0
	v_mfma_i32_16x16x32_i8 v[224:227], a[178:179], v[142:143], v[224:227]// 000000006900: D3D700E0 0F831DB2
	buffer_load_dwordx4 a[48:51], v42, s[12:15], 0 offen       // 000000006908: E05C1000 8083302A
	v_mfma_i32_16x16x32_i8 v[228:231], a[176:177], v[172:173], v[228:231]// 000000006910: D3D700E4 0F9359B0
	v_mfma_i32_16x16x32_i8 v[228:231], a[178:179], v[174:175], v[228:231]// 000000006918: D3D700E4 0F935DB2
	v_mfma_i32_16x16x32_i8 v[232:235], a[180:181], v[140:141], v[232:235]// 000000006920: D3D700E8 0FA319B4
	v_mfma_i32_16x16x32_i8 v[232:235], a[182:183], v[142:143], v[232:235]// 000000006928: D3D700E8 0FA31DB6
	buffer_load_dwordx4 a[52:55], v43, s[12:15], 0 offen       // 000000006930: E05C1000 8083342B
	v_mfma_i32_16x16x32_i8 v[236:239], a[180:181], v[172:173], v[236:239]// 000000006938: D3D700EC 0FB359B4
	v_mfma_i32_16x16x32_i8 v[236:239], a[182:183], v[174:175], v[236:239]// 000000006940: D3D700EC 0FB35DB6
	v_mfma_i32_16x16x32_i8 v[240:243], a[184:185], v[140:141], v[240:243]// 000000006948: D3D700F0 0FC319B8
	v_mfma_i32_16x16x32_i8 v[240:243], a[186:187], v[142:143], v[240:243]// 000000006950: D3D700F0 0FC31DBA
	buffer_load_dwordx4 a[56:59], v44, s[12:15], 0 offen       // 000000006958: E05C1000 8083382C
	v_mfma_i32_16x16x32_i8 v[244:247], a[184:185], v[172:173], v[244:247]// 000000006960: D3D700F4 0FD359B8
	v_mfma_i32_16x16x32_i8 v[244:247], a[186:187], v[174:175], v[244:247]// 000000006968: D3D700F4 0FD35DBA
	v_mfma_i32_16x16x32_i8 v[248:251], a[188:189], v[140:141], v[248:251]// 000000006970: D3D700F8 0FE319BC
	v_mfma_i32_16x16x32_i8 v[248:251], a[190:191], v[142:143], v[248:251]// 000000006978: D3D700F8 0FE31DBE
	buffer_load_dwordx4 a[60:63], v45, s[12:15], 0 offen       // 000000006980: E05C1000 80833C2D
	s_add_u32 s12, s78, s12                                    // 000000006988: 800C0C4E
	s_addc_u32 s13, 0, s13                                     // 00000000698C: 820D0D80
	v_mfma_i32_16x16x32_i8 v[252:255], a[188:189], v[172:173], v[252:255]// 000000006990: D3D700FC 0FF359BC
	v_mfma_i32_16x16x32_i8 v[252:255], a[190:191], v[174:175], v[252:255]// 000000006998: D3D700FC 0FF35DBE
	s_waitcnt vmcnt(45)                                        // 0000000069A0: BF8C8F7D
	v_mfma_i32_16x16x32_i8 v[224:227], a[192:193], v[144:145], v[224:227]// 0000000069A4: D3D700E0 0F8321C0
	v_mfma_i32_16x16x32_i8 v[224:227], a[194:195], v[146:147], v[224:227]// 0000000069AC: D3D700E0 0F8325C2
	buffer_load_dwordx4 a[64:67], v42, s[12:15], 0 offen       // 0000000069B4: E05C1000 8083402A
	v_mfma_i32_16x16x32_i8 v[228:231], a[192:193], v[176:177], v[228:231]// 0000000069BC: D3D700E4 0F9361C0
	v_mfma_i32_16x16x32_i8 v[228:231], a[194:195], v[178:179], v[228:231]// 0000000069C4: D3D700E4 0F9365C2
	v_mfma_i32_16x16x32_i8 v[232:235], a[196:197], v[144:145], v[232:235]// 0000000069CC: D3D700E8 0FA321C4
	v_mfma_i32_16x16x32_i8 v[232:235], a[198:199], v[146:147], v[232:235]// 0000000069D4: D3D700E8 0FA325C6
	buffer_load_dwordx4 a[68:71], v43, s[12:15], 0 offen       // 0000000069DC: E05C1000 8083442B
	v_mfma_i32_16x16x32_i8 v[236:239], a[196:197], v[176:177], v[236:239]// 0000000069E4: D3D700EC 0FB361C4
	v_mfma_i32_16x16x32_i8 v[236:239], a[198:199], v[178:179], v[236:239]// 0000000069EC: D3D700EC 0FB365C6
	v_mfma_i32_16x16x32_i8 v[240:243], a[200:201], v[144:145], v[240:243]// 0000000069F4: D3D700F0 0FC321C8
	v_mfma_i32_16x16x32_i8 v[240:243], a[202:203], v[146:147], v[240:243]// 0000000069FC: D3D700F0 0FC325CA
	buffer_load_dwordx4 a[72:75], v44, s[12:15], 0 offen       // 000000006A04: E05C1000 8083482C
	v_mfma_i32_16x16x32_i8 v[244:247], a[200:201], v[176:177], v[244:247]// 000000006A0C: D3D700F4 0FD361C8
	v_mfma_i32_16x16x32_i8 v[244:247], a[202:203], v[178:179], v[244:247]// 000000006A14: D3D700F4 0FD365CA
	v_mfma_i32_16x16x32_i8 v[248:251], a[204:205], v[144:145], v[248:251]// 000000006A1C: D3D700F8 0FE321CC
	v_mfma_i32_16x16x32_i8 v[248:251], a[206:207], v[146:147], v[248:251]// 000000006A24: D3D700F8 0FE325CE
	buffer_load_dwordx4 a[76:79], v45, s[12:15], 0 offen       // 000000006A2C: E05C1000 80834C2D
	s_add_u32 s12, s78, s12                                    // 000000006A34: 800C0C4E
	s_addc_u32 s13, 0, s13                                     // 000000006A38: 820D0D80
	v_mfma_i32_16x16x32_i8 v[252:255], a[204:205], v[176:177], v[252:255]// 000000006A3C: D3D700FC 0FF361CC
	v_mfma_i32_16x16x32_i8 v[252:255], a[206:207], v[178:179], v[252:255]// 000000006A44: D3D700FC 0FF365CE
	s_waitcnt vmcnt(45)                                        // 000000006A4C: BF8C8F7D
	v_mfma_i32_16x16x32_i8 v[224:227], a[208:209], v[148:149], v[224:227]// 000000006A50: D3D700E0 0F8329D0
	v_mfma_i32_16x16x32_i8 v[224:227], a[210:211], v[150:151], v[224:227]// 000000006A58: D3D700E0 0F832DD2
	buffer_load_dwordx4 a[80:83], v42, s[12:15], 0 offen       // 000000006A60: E05C1000 8083502A
	v_mfma_i32_16x16x32_i8 v[228:231], a[208:209], v[180:181], v[228:231]// 000000006A68: D3D700E4 0F9369D0
	v_mfma_i32_16x16x32_i8 v[228:231], a[210:211], v[182:183], v[228:231]// 000000006A70: D3D700E4 0F936DD2
	v_mfma_i32_16x16x32_i8 v[232:235], a[212:213], v[148:149], v[232:235]// 000000006A78: D3D700E8 0FA329D4
	v_mfma_i32_16x16x32_i8 v[232:235], a[214:215], v[150:151], v[232:235]// 000000006A80: D3D700E8 0FA32DD6
	buffer_load_dwordx4 a[84:87], v43, s[12:15], 0 offen       // 000000006A88: E05C1000 8083542B
	v_mfma_i32_16x16x32_i8 v[236:239], a[212:213], v[180:181], v[236:239]// 000000006A90: D3D700EC 0FB369D4
	v_mfma_i32_16x16x32_i8 v[236:239], a[214:215], v[182:183], v[236:239]// 000000006A98: D3D700EC 0FB36DD6
	v_mfma_i32_16x16x32_i8 v[240:243], a[216:217], v[148:149], v[240:243]// 000000006AA0: D3D700F0 0FC329D8
	v_mfma_i32_16x16x32_i8 v[240:243], a[218:219], v[150:151], v[240:243]// 000000006AA8: D3D700F0 0FC32DDA
	buffer_load_dwordx4 a[88:91], v44, s[12:15], 0 offen       // 000000006AB0: E05C1000 8083582C
	v_mfma_i32_16x16x32_i8 v[244:247], a[216:217], v[180:181], v[244:247]// 000000006AB8: D3D700F4 0FD369D8
	v_mfma_i32_16x16x32_i8 v[244:247], a[218:219], v[182:183], v[244:247]// 000000006AC0: D3D700F4 0FD36DDA
	v_mfma_i32_16x16x32_i8 v[248:251], a[220:221], v[148:149], v[248:251]// 000000006AC8: D3D700F8 0FE329DC
	v_mfma_i32_16x16x32_i8 v[248:251], a[222:223], v[150:151], v[248:251]// 000000006AD0: D3D700F8 0FE32DDE
	buffer_load_dwordx4 a[92:95], v45, s[12:15], 0 offen       // 000000006AD8: E05C1000 80835C2D
	s_add_u32 s12, s78, s12                                    // 000000006AE0: 800C0C4E
	s_addc_u32 s13, 0, s13                                     // 000000006AE4: 820D0D80
	v_mfma_i32_16x16x32_i8 v[252:255], a[220:221], v[180:181], v[252:255]// 000000006AE8: D3D700FC 0FF369DC
	v_mfma_i32_16x16x32_i8 v[252:255], a[222:223], v[182:183], v[252:255]// 000000006AF0: D3D700FC 0FF36DDE
	s_waitcnt vmcnt(45)                                        // 000000006AF8: BF8C8F7D
	v_mfma_i32_16x16x32_i8 v[224:227], a[224:225], v[152:153], v[224:227]// 000000006AFC: D3D700E0 0F8331E0
	v_mfma_i32_16x16x32_i8 v[224:227], a[226:227], v[154:155], v[224:227]// 000000006B04: D3D700E0 0F8335E2
	buffer_load_dwordx4 a[96:99], v42, s[12:15], 0 offen       // 000000006B0C: E05C1000 8083602A
	v_mfma_i32_16x16x32_i8 v[228:231], a[224:225], v[184:185], v[228:231]// 000000006B14: D3D700E4 0F9371E0
	v_mfma_i32_16x16x32_i8 v[228:231], a[226:227], v[186:187], v[228:231]// 000000006B1C: D3D700E4 0F9375E2
	v_mfma_i32_16x16x32_i8 v[232:235], a[228:229], v[152:153], v[232:235]// 000000006B24: D3D700E8 0FA331E4
	v_mfma_i32_16x16x32_i8 v[232:235], a[230:231], v[154:155], v[232:235]// 000000006B2C: D3D700E8 0FA335E6
	buffer_load_dwordx4 a[100:103], v43, s[12:15], 0 offen     // 000000006B34: E05C1000 8083642B
	v_mfma_i32_16x16x32_i8 v[236:239], a[228:229], v[184:185], v[236:239]// 000000006B3C: D3D700EC 0FB371E4
	v_mfma_i32_16x16x32_i8 v[236:239], a[230:231], v[186:187], v[236:239]// 000000006B44: D3D700EC 0FB375E6
	v_mfma_i32_16x16x32_i8 v[240:243], a[232:233], v[152:153], v[240:243]// 000000006B4C: D3D700F0 0FC331E8
	v_mfma_i32_16x16x32_i8 v[240:243], a[234:235], v[154:155], v[240:243]// 000000006B54: D3D700F0 0FC335EA
	buffer_load_dwordx4 a[104:107], v44, s[12:15], 0 offen     // 000000006B5C: E05C1000 8083682C
	v_mfma_i32_16x16x32_i8 v[244:247], a[232:233], v[184:185], v[244:247]// 000000006B64: D3D700F4 0FD371E8
	v_mfma_i32_16x16x32_i8 v[244:247], a[234:235], v[186:187], v[244:247]// 000000006B6C: D3D700F4 0FD375EA
	v_mfma_i32_16x16x32_i8 v[248:251], a[236:237], v[152:153], v[248:251]// 000000006B74: D3D700F8 0FE331EC
	v_mfma_i32_16x16x32_i8 v[248:251], a[238:239], v[154:155], v[248:251]// 000000006B7C: D3D700F8 0FE335EE
	buffer_load_dwordx4 a[108:111], v45, s[12:15], 0 offen     // 000000006B84: E05C1000 80836C2D
	s_add_u32 s12, s78, s12                                    // 000000006B8C: 800C0C4E
	s_addc_u32 s13, 0, s13                                     // 000000006B90: 820D0D80
	v_mfma_i32_16x16x32_i8 v[252:255], a[236:237], v[184:185], v[252:255]// 000000006B94: D3D700FC 0FF371EC
	v_mfma_i32_16x16x32_i8 v[252:255], a[238:239], v[186:187], v[252:255]// 000000006B9C: D3D700FC 0FF375EE
	s_waitcnt vmcnt(44)                                        // 000000006BA4: BF8C8F7C
	v_mfma_i32_16x16x32_i8 v[224:227], a[240:241], v[156:157], v[224:227]// 000000006BA8: D3D700E0 0F8339F0
	v_mfma_i32_16x16x32_i8 v[224:227], a[242:243], v[158:159], v[224:227]// 000000006BB0: D3D700E0 0F833DF2
	buffer_load_dwordx4 a[112:115], v42, s[12:15], 0 offen     // 000000006BB8: E05C1000 8083702A
	v_mfma_i32_16x16x32_i8 v[228:231], a[240:241], v[188:189], v[228:231]// 000000006BC0: D3D700E4 0F9379F0
	v_mfma_i32_16x16x32_i8 v[228:231], a[242:243], v[190:191], v[228:231]// 000000006BC8: D3D700E4 0F937DF2
	buffer_load_dword v12, v5, s[16:19], 0 offen               // 000000006BD0: E0501000 80040C05
	v_mfma_i32_16x16x32_i8 v[232:235], a[244:245], v[156:157], v[232:235]// 000000006BD8: D3D700E8 0FA339F4
	v_mfma_i32_16x16x32_i8 v[232:235], a[246:247], v[158:159], v[232:235]// 000000006BE0: D3D700E8 0FA33DF6
	buffer_load_dwordx4 a[116:119], v43, s[12:15], 0 offen     // 000000006BE8: E05C1000 8083742B
	v_mfma_i32_16x16x32_i8 v[236:239], a[244:245], v[188:189], v[236:239]// 000000006BF0: D3D700EC 0FB379F4
	v_mfma_i32_16x16x32_i8 v[236:239], a[246:247], v[190:191], v[236:239]// 000000006BF8: D3D700EC 0FB37DF6
	v_mfma_i32_16x16x32_i8 v[240:243], a[248:249], v[156:157], v[240:243]// 000000006C00: D3D700F0 0FC339F8
	v_mfma_i32_16x16x32_i8 v[240:243], a[250:251], v[158:159], v[240:243]// 000000006C08: D3D700F0 0FC33DFA
	buffer_load_dwordx4 a[120:123], v44, s[12:15], 0 offen     // 000000006C10: E05C1000 8083782C
	v_mfma_i32_16x16x32_i8 v[244:247], a[248:249], v[188:189], v[244:247]// 000000006C18: D3D700F4 0FD379F8
	v_mfma_i32_16x16x32_i8 v[244:247], a[250:251], v[190:191], v[244:247]// 000000006C20: D3D700F4 0FD37DFA
	v_mfma_i32_16x16x32_i8 v[248:251], a[252:253], v[156:157], v[248:251]// 000000006C28: D3D700F8 0FE339FC
	v_mfma_i32_16x16x32_i8 v[248:251], a[254:255], v[158:159], v[248:251]// 000000006C30: D3D700F8 0FE33DFE
	buffer_load_dwordx4 a[124:127], v45, s[12:15], 0 offen     // 000000006C38: E05C1000 80837C2D
	v_mfma_i32_16x16x32_i8 v[252:255], a[252:253], v[188:189], v[252:255]// 000000006C40: D3D700FC 0FF379FC
	v_mfma_i32_16x16x32_i8 v[252:255], a[254:255], v[190:191], v[252:255]// 000000006C48: D3D700FC 0FF37DFE
	s_add_u32 s60, 0x200, s80                                  // 000000006C50: 803C50FF 00000200
	s_cmp_lt_u32 s60, s81                                      // 000000006C58: BF0A513C
	s_cselect_b32 s56, s56, 0                                  // 000000006C5C: 85388038
	s_cselect_b32 s78, s78, 0                                  // 000000006C60: 854E804E
	s_cselect_b32 s79, s79, 0                                  // 000000006C64: 854F804F
	s_add_u32 s12, s56, s12                                    // 000000006C68: 800C0C38
	s_addc_u32 s13, 0, s13                                     // 000000006C6C: 820D0D80
	s_add_u32 s16, s79, s16                                    // 000000006C70: 8010104F
	s_addc_u32 s17, 0, s17                                     // 000000006C74: 82111180
	v_cvt_f32_i32_e32 v224, v224                               // 000000006C78: 7FC00BE0
	v_cvt_f32_i32_e32 v225, v225                               // 000000006C7C: 7FC20BE1
	v_cvt_f32_i32_e32 v226, v226                               // 000000006C80: 7FC40BE2
	v_cvt_f32_i32_e32 v227, v227                               // 000000006C84: 7FC60BE3
	v_mul_f32_e32 v224, v24, v224                              // 000000006C88: 0BC1C118
	v_mul_f32_e32 v225, v24, v225                              // 000000006C8C: 0BC3C318
	v_mul_f32_e32 v226, v24, v226                              // 000000006C90: 0BC5C518
	v_mul_f32_e32 v227, v24, v227                              // 000000006C94: 0BC7C718
	v_mul_f32_dpp v224, v13, v224 row_newbcast:0 row_mask:0xf bank_mask:0xf// 000000006C98: 0BC1C0FA FF01500D
	v_mul_f32_dpp v225, v13, v225 row_newbcast:1 row_mask:0xf bank_mask:0xf// 000000006CA0: 0BC3C2FA FF01510D
	v_mul_f32_dpp v226, v13, v226 row_newbcast:2 row_mask:0xf bank_mask:0xf// 000000006CA8: 0BC5C4FA FF01520D
	v_mul_f32_dpp v227, v13, v227 row_newbcast:3 row_mask:0xf bank_mask:0xf// 000000006CB0: 0BC7C6FA FF01530D
	v_mul_f32_e32 v224, v20, v224                              // 000000006CB8: 0BC1C114
	v_mul_f32_e32 v225, v20, v225                              // 000000006CBC: 0BC3C314
	v_mul_f32_e32 v226, v20, v226                              // 000000006CC0: 0BC5C514
	v_mul_f32_e32 v227, v20, v227                              // 000000006CC4: 0BC7C714
	v_cvt_f32_i32_e32 v228, v228                               // 000000006CC8: 7FC80BE4
	v_cvt_f32_i32_e32 v229, v229                               // 000000006CCC: 7FCA0BE5
	v_cvt_f32_i32_e32 v230, v230                               // 000000006CD0: 7FCC0BE6
	v_cvt_f32_i32_e32 v231, v231                               // 000000006CD4: 7FCE0BE7
	v_mul_f32_e32 v228, v25, v228                              // 000000006CD8: 0BC9C919
	v_mul_f32_e32 v229, v25, v229                              // 000000006CDC: 0BCBCB19
	v_mul_f32_e32 v230, v25, v230                              // 000000006CE0: 0BCDCD19
	v_mul_f32_e32 v231, v25, v231                              // 000000006CE4: 0BCFCF19
	v_mul_f32_dpp v228, v13, v228 row_newbcast:0 row_mask:0xf bank_mask:0xf// 000000006CE8: 0BC9C8FA FF01500D
	v_mul_f32_dpp v229, v13, v229 row_newbcast:1 row_mask:0xf bank_mask:0xf// 000000006CF0: 0BCBCAFA FF01510D
	v_mul_f32_dpp v230, v13, v230 row_newbcast:2 row_mask:0xf bank_mask:0xf// 000000006CF8: 0BCDCCFA FF01520D
	v_mul_f32_dpp v231, v13, v231 row_newbcast:3 row_mask:0xf bank_mask:0xf// 000000006D00: 0BCFCEFA FF01530D
	v_mul_f32_e32 v228, v21, v228                              // 000000006D08: 0BC9C915
	v_mul_f32_e32 v229, v21, v229                              // 000000006D0C: 0BCBCB15
	v_mul_f32_e32 v230, v21, v230                              // 000000006D10: 0BCDCD15
	v_mul_f32_e32 v231, v21, v231                              // 000000006D14: 0BCFCF15
	v_cvt_f32_i32_e32 v232, v232                               // 000000006D18: 7FD00BE8
	v_cvt_f32_i32_e32 v233, v233                               // 000000006D1C: 7FD20BE9
	v_cvt_f32_i32_e32 v234, v234                               // 000000006D20: 7FD40BEA
	v_cvt_f32_i32_e32 v235, v235                               // 000000006D24: 7FD60BEB
	v_mul_f32_e32 v232, v24, v232                              // 000000006D28: 0BD1D118
	v_mul_f32_e32 v233, v24, v233                              // 000000006D2C: 0BD3D318
	v_mul_f32_e32 v234, v24, v234                              // 000000006D30: 0BD5D518
	v_mul_f32_e32 v235, v24, v235                              // 000000006D34: 0BD7D718
	v_mul_f32_dpp v232, v13, v232 row_newbcast:4 row_mask:0xf bank_mask:0xf// 000000006D38: 0BD1D0FA FF01540D
	v_mul_f32_dpp v233, v13, v233 row_newbcast:5 row_mask:0xf bank_mask:0xf// 000000006D40: 0BD3D2FA FF01550D
	v_mul_f32_dpp v234, v13, v234 row_newbcast:6 row_mask:0xf bank_mask:0xf// 000000006D48: 0BD5D4FA FF01560D
	v_mul_f32_dpp v235, v13, v235 row_newbcast:7 row_mask:0xf bank_mask:0xf// 000000006D50: 0BD7D6FA FF01570D
	v_mul_f32_e32 v232, v20, v232                              // 000000006D58: 0BD1D114
	v_mul_f32_e32 v233, v20, v233                              // 000000006D5C: 0BD3D314
	v_mul_f32_e32 v234, v20, v234                              // 000000006D60: 0BD5D514
	v_mul_f32_e32 v235, v20, v235                              // 000000006D64: 0BD7D714
	v_cvt_f32_i32_e32 v236, v236                               // 000000006D68: 7FD80BEC
	v_cvt_f32_i32_e32 v237, v237                               // 000000006D6C: 7FDA0BED
	v_cvt_f32_i32_e32 v238, v238                               // 000000006D70: 7FDC0BEE
	v_cvt_f32_i32_e32 v239, v239                               // 000000006D74: 7FDE0BEF
	v_mul_f32_e32 v236, v25, v236                              // 000000006D78: 0BD9D919
	v_mul_f32_e32 v237, v25, v237                              // 000000006D7C: 0BDBDB19
	v_mul_f32_e32 v238, v25, v238                              // 000000006D80: 0BDDDD19
	v_mul_f32_e32 v239, v25, v239                              // 000000006D84: 0BDFDF19
	v_mul_f32_dpp v236, v13, v236 row_newbcast:4 row_mask:0xf bank_mask:0xf// 000000006D88: 0BD9D8FA FF01540D
	v_mul_f32_dpp v237, v13, v237 row_newbcast:5 row_mask:0xf bank_mask:0xf// 000000006D90: 0BDBDAFA FF01550D
	v_mul_f32_dpp v238, v13, v238 row_newbcast:6 row_mask:0xf bank_mask:0xf// 000000006D98: 0BDDDCFA FF01560D
	v_mul_f32_dpp v239, v13, v239 row_newbcast:7 row_mask:0xf bank_mask:0xf// 000000006DA0: 0BDFDEFA FF01570D
	v_mul_f32_e32 v236, v21, v236                              // 000000006DA8: 0BD9D915
	v_mul_f32_e32 v237, v21, v237                              // 000000006DAC: 0BDBDB15
	v_mul_f32_e32 v238, v21, v238                              // 000000006DB0: 0BDDDD15
	v_mul_f32_e32 v239, v21, v239                              // 000000006DB4: 0BDFDF15
	v_cvt_f32_i32_e32 v240, v240                               // 000000006DB8: 7FE00BF0
	v_cvt_f32_i32_e32 v241, v241                               // 000000006DBC: 7FE20BF1
	v_cvt_f32_i32_e32 v242, v242                               // 000000006DC0: 7FE40BF2
	v_cvt_f32_i32_e32 v243, v243                               // 000000006DC4: 7FE60BF3
	v_mul_f32_e32 v240, v24, v240                              // 000000006DC8: 0BE1E118
	v_mul_f32_e32 v241, v24, v241                              // 000000006DCC: 0BE3E318
	v_mul_f32_e32 v242, v24, v242                              // 000000006DD0: 0BE5E518
	v_mul_f32_e32 v243, v24, v243                              // 000000006DD4: 0BE7E718
	v_mul_f32_dpp v240, v13, v240 row_newbcast:8 row_mask:0xf bank_mask:0xf// 000000006DD8: 0BE1E0FA FF01580D
	v_mul_f32_dpp v241, v13, v241 row_newbcast:9 row_mask:0xf bank_mask:0xf// 000000006DE0: 0BE3E2FA FF01590D
	v_mul_f32_dpp v242, v13, v242 row_newbcast:10 row_mask:0xf bank_mask:0xf// 000000006DE8: 0BE5E4FA FF015A0D
	v_mul_f32_dpp v243, v13, v243 row_newbcast:11 row_mask:0xf bank_mask:0xf// 000000006DF0: 0BE7E6FA FF015B0D
	v_mul_f32_e32 v240, v20, v240                              // 000000006DF8: 0BE1E114
	v_mul_f32_e32 v241, v20, v241                              // 000000006DFC: 0BE3E314
	v_mul_f32_e32 v242, v20, v242                              // 000000006E00: 0BE5E514
	v_mul_f32_e32 v243, v20, v243                              // 000000006E04: 0BE7E714
	v_cvt_f32_i32_e32 v244, v244                               // 000000006E08: 7FE80BF4
	v_cvt_f32_i32_e32 v245, v245                               // 000000006E0C: 7FEA0BF5
	v_cvt_f32_i32_e32 v246, v246                               // 000000006E10: 7FEC0BF6
	v_cvt_f32_i32_e32 v247, v247                               // 000000006E14: 7FEE0BF7
	v_mul_f32_e32 v244, v25, v244                              // 000000006E18: 0BE9E919
	v_mul_f32_e32 v245, v25, v245                              // 000000006E1C: 0BEBEB19
	v_mul_f32_e32 v246, v25, v246                              // 000000006E20: 0BEDED19
	v_mul_f32_e32 v247, v25, v247                              // 000000006E24: 0BEFEF19
	v_mul_f32_dpp v244, v13, v244 row_newbcast:8 row_mask:0xf bank_mask:0xf// 000000006E28: 0BE9E8FA FF01580D
	v_mul_f32_dpp v245, v13, v245 row_newbcast:9 row_mask:0xf bank_mask:0xf// 000000006E30: 0BEBEAFA FF01590D
	v_mul_f32_dpp v246, v13, v246 row_newbcast:10 row_mask:0xf bank_mask:0xf// 000000006E38: 0BEDECFA FF015A0D
	v_mul_f32_dpp v247, v13, v247 row_newbcast:11 row_mask:0xf bank_mask:0xf// 000000006E40: 0BEFEEFA FF015B0D
	v_mul_f32_e32 v244, v21, v244                              // 000000006E48: 0BE9E915
	v_mul_f32_e32 v245, v21, v245                              // 000000006E4C: 0BEBEB15
	v_mul_f32_e32 v246, v21, v246                              // 000000006E50: 0BEDED15
	v_mul_f32_e32 v247, v21, v247                              // 000000006E54: 0BEFEF15
	v_cvt_f32_i32_e32 v248, v248                               // 000000006E58: 7FF00BF8
	v_cvt_f32_i32_e32 v249, v249                               // 000000006E5C: 7FF20BF9
	v_cvt_f32_i32_e32 v250, v250                               // 000000006E60: 7FF40BFA
	v_cvt_f32_i32_e32 v251, v251                               // 000000006E64: 7FF60BFB
	v_mul_f32_e32 v248, v24, v248                              // 000000006E68: 0BF1F118
	v_mul_f32_e32 v249, v24, v249                              // 000000006E6C: 0BF3F318
	v_mul_f32_e32 v250, v24, v250                              // 000000006E70: 0BF5F518
	v_mul_f32_e32 v251, v24, v251                              // 000000006E74: 0BF7F718
	v_mul_f32_dpp v248, v13, v248 row_newbcast:12 row_mask:0xf bank_mask:0xf// 000000006E78: 0BF1F0FA FF015C0D
	v_mul_f32_dpp v249, v13, v249 row_newbcast:13 row_mask:0xf bank_mask:0xf// 000000006E80: 0BF3F2FA FF015D0D
	v_mul_f32_dpp v250, v13, v250 row_newbcast:14 row_mask:0xf bank_mask:0xf// 000000006E88: 0BF5F4FA FF015E0D
	v_mul_f32_dpp v251, v13, v251 row_newbcast:15 row_mask:0xf bank_mask:0xf// 000000006E90: 0BF7F6FA FF015F0D
	v_mul_f32_e32 v248, v20, v248                              // 000000006E98: 0BF1F114
	v_mul_f32_e32 v249, v20, v249                              // 000000006E9C: 0BF3F314
	v_mul_f32_e32 v250, v20, v250                              // 000000006EA0: 0BF5F514
	v_mul_f32_e32 v251, v20, v251                              // 000000006EA4: 0BF7F714
	v_cvt_f32_i32_e32 v252, v252                               // 000000006EA8: 7FF80BFC
	v_cvt_f32_i32_e32 v253, v253                               // 000000006EAC: 7FFA0BFD
	v_cvt_f32_i32_e32 v254, v254                               // 000000006EB0: 7FFC0BFE
	v_cvt_f32_i32_e32 v255, v255                               // 000000006EB4: 7FFE0BFF
	v_mul_f32_e32 v252, v25, v252                              // 000000006EB8: 0BF9F919
	v_mul_f32_e32 v253, v25, v253                              // 000000006EBC: 0BFBFB19
	v_mul_f32_e32 v254, v25, v254                              // 000000006EC0: 0BFDFD19
	v_mul_f32_e32 v255, v25, v255                              // 000000006EC4: 0BFFFF19
	v_mul_f32_dpp v252, v13, v252 row_newbcast:12 row_mask:0xf bank_mask:0xf// 000000006EC8: 0BF9F8FA FF015C0D
	v_mul_f32_dpp v253, v13, v253 row_newbcast:13 row_mask:0xf bank_mask:0xf// 000000006ED0: 0BFBFAFA FF015D0D
	v_mul_f32_dpp v254, v13, v254 row_newbcast:14 row_mask:0xf bank_mask:0xf// 000000006ED8: 0BFDFCFA FF015E0D
	v_mul_f32_dpp v255, v13, v255 row_newbcast:15 row_mask:0xf bank_mask:0xf// 000000006EE0: 0BFFFEFA FF015F0D
	v_mul_f32_e32 v252, v21, v252                              // 000000006EE8: 0BF9F915
	v_mul_f32_e32 v253, v21, v253                              // 000000006EEC: 0BFBFB15
	v_mul_f32_e32 v254, v21, v254                              // 000000006EF0: 0BFDFD15
	v_mul_f32_e32 v255, v21, v255                              // 000000006EF4: 0BFFFF15
	v_cvt_pkrtz_f16_f32 v224, v224, v225                       // 000000006EF8: D29600E0 0003C3E0
	v_cvt_pkrtz_f16_f32 v225, v226, v227                       // 000000006F00: D29600E1 0003C7E2
	v_cvt_pkrtz_f16_f32 v226, v228, v229                       // 000000006F08: D29600E2 0003CBE4
	v_cvt_pkrtz_f16_f32 v227, v230, v231                       // 000000006F10: D29600E3 0003CFE6
	v_cvt_pkrtz_f16_f32 v228, v232, v233                       // 000000006F18: D29600E4 0003D3E8
	v_cvt_pkrtz_f16_f32 v229, v234, v235                       // 000000006F20: D29600E5 0003D7EA
	v_cvt_pkrtz_f16_f32 v230, v236, v237                       // 000000006F28: D29600E6 0003DBEC
	v_cvt_pkrtz_f16_f32 v231, v238, v239                       // 000000006F30: D29600E7 0003DFEE
	v_cvt_pkrtz_f16_f32 v232, v240, v241                       // 000000006F38: D29600E8 0003E3F0
	v_cvt_pkrtz_f16_f32 v233, v242, v243                       // 000000006F40: D29600E9 0003E7F2
	v_cvt_pkrtz_f16_f32 v234, v244, v245                       // 000000006F48: D29600EA 0003EBF4
	v_cvt_pkrtz_f16_f32 v235, v246, v247                       // 000000006F50: D29600EB 0003EFF6
	v_cvt_pkrtz_f16_f32 v236, v248, v249                       // 000000006F58: D29600EC 0003F3F8
	v_cvt_pkrtz_f16_f32 v237, v250, v251                       // 000000006F60: D29600ED 0003F7FA
	v_cvt_pkrtz_f16_f32 v238, v252, v253                       // 000000006F68: D29600EE 0003FBFC
	v_cvt_pkrtz_f16_f32 v239, v254, v255                       // 000000006F70: D29600EF 0003FFFE
	ds_write_b64 v3, v[224:225] offset:35072                   // 000000006F78: D89A8900 0000E003
	ds_write_b64 v3, v[226:227] offset:43776                   // 000000006F80: D89AAB00 0000E203
	ds_write_b64 v3, v[228:229] offset:37248                   // 000000006F88: D89A9180 0000E403
	ds_write_b64 v3, v[230:231] offset:45952                   // 000000006F90: D89AB380 0000E603
	ds_write_b64 v3, v[232:233] offset:39424                   // 000000006F98: D89A9A00 0000E803
	ds_write_b64 v3, v[234:235] offset:48128                   // 000000006FA0: D89ABC00 0000EA03
	ds_write_b64 v3, v[236:237] offset:41600                   // 000000006FA8: D89AA280 0000EC03
	ds_write_b64 v3, v[238:239] offset:50304                   // 000000006FB0: D89AC480 0000EE03
	s_waitcnt lgkmcnt(0)                                       // 000000006FB8: BF8CC07F
	s_barrier                                                  // 000000006FBC: BF8A0000
	ds_read_b32 v64, v4 offset:35072                           // 000000006FC0: D86C8900 40000004
	ds_read_b32 v65, v4 offset:39424                           // 000000006FC8: D86C9A00 41000004
	ds_read_b32 v66, v4 offset:35104                           // 000000006FD0: D86C8920 42000004
	ds_read_b32 v67, v4 offset:39456                           // 000000006FD8: D86C9A20 43000004
	ds_read_b32 v68, v4 offset:35136                           // 000000006FE0: D86C8940 44000004
	ds_read_b32 v69, v4 offset:39488                           // 000000006FE8: D86C9A40 45000004
	ds_read_b32 v70, v4 offset:35168                           // 000000006FF0: D86C8960 46000004
	ds_read_b32 v71, v4 offset:39520                           // 000000006FF8: D86C9A60 47000004
	ds_read_b32 v72, v4 offset:43776                           // 000000007000: D86CAB00 48000004
	ds_read_b32 v73, v4 offset:48128                           // 000000007008: D86CBC00 49000004
	ds_read_b32 v74, v4 offset:43808                           // 000000007010: D86CAB20 4A000004
	ds_read_b32 v75, v4 offset:48160                           // 000000007018: D86CBC20 4B000004
	ds_read_b32 v76, v4 offset:43840                           // 000000007020: D86CAB40 4C000004
	ds_read_b32 v77, v4 offset:48192                           // 000000007028: D86CBC40 4D000004
	ds_read_b32 v78, v4 offset:43872                           // 000000007030: D86CAB60 4E000004
	ds_read_b32 v79, v4 offset:48224                           // 000000007038: D86CBC60 4F000004
	s_waitcnt lgkmcnt(0)                                       // 000000007040: BF8CC07F
	s_mov_b64 exec, s[20:21]                                   // 000000007044: BEFE0114
	global_atomic_pk_add_f16 v80, v64, s[8:9]                  // 000000007048: DD388000 00084050
	s_mov_b64 exec, s[36:37]                                   // 000000007050: BEFE0124
	s_mov_b64 exec, s[20:21]                                   // 000000007054: BEFE0114
	global_atomic_pk_add_f16 v80, v65, s[8:9] offset:256       // 000000007058: DD388100 00084150
	s_mov_b64 exec, s[36:37]                                   // 000000007060: BEFE0124
	s_mov_b64 exec, s[22:23]                                   // 000000007064: BEFE0116
	global_atomic_pk_add_f16 v82, v66, s[8:9]                  // 000000007068: DD388000 00084252
	s_mov_b64 exec, s[36:37]                                   // 000000007070: BEFE0124
	s_mov_b64 exec, s[22:23]                                   // 000000007074: BEFE0116
	global_atomic_pk_add_f16 v82, v67, s[8:9] offset:256       // 000000007078: DD388100 00084352
	s_mov_b64 exec, s[36:37]                                   // 000000007080: BEFE0124
	s_mov_b64 exec, s[24:25]                                   // 000000007084: BEFE0118
	global_atomic_pk_add_f16 v84, v68, s[8:9]                  // 000000007088: DD388000 00084454
	s_mov_b64 exec, s[36:37]                                   // 000000007090: BEFE0124
	s_mov_b64 exec, s[24:25]                                   // 000000007094: BEFE0118
	global_atomic_pk_add_f16 v84, v69, s[8:9] offset:256       // 000000007098: DD388100 00084554
	s_mov_b64 exec, s[36:37]                                   // 0000000070A0: BEFE0124
	s_mov_b64 exec, s[26:27]                                   // 0000000070A4: BEFE011A
	global_atomic_pk_add_f16 v86, v70, s[8:9]                  // 0000000070A8: DD388000 00084656
	s_mov_b64 exec, s[36:37]                                   // 0000000070B0: BEFE0124
	s_mov_b64 exec, s[26:27]                                   // 0000000070B4: BEFE011A
	global_atomic_pk_add_f16 v86, v71, s[8:9] offset:256       // 0000000070B8: DD388100 00084756
	s_mov_b64 exec, s[36:37]                                   // 0000000070C0: BEFE0124
	s_mov_b64 exec, s[28:29]                                   // 0000000070C4: BEFE011C
	global_atomic_pk_add_f16 v88, v72, s[8:9]                  // 0000000070C8: DD388000 00084858
	s_mov_b64 exec, s[36:37]                                   // 0000000070D0: BEFE0124
	s_mov_b64 exec, s[28:29]                                   // 0000000070D4: BEFE011C
	global_atomic_pk_add_f16 v88, v73, s[8:9] offset:256       // 0000000070D8: DD388100 00084958
	s_mov_b64 exec, s[36:37]                                   // 0000000070E0: BEFE0124
	s_mov_b64 exec, s[30:31]                                   // 0000000070E4: BEFE011E
	global_atomic_pk_add_f16 v90, v74, s[8:9]                  // 0000000070E8: DD388000 00084A5A
	s_mov_b64 exec, s[36:37]                                   // 0000000070F0: BEFE0124
	s_mov_b64 exec, s[30:31]                                   // 0000000070F4: BEFE011E
	global_atomic_pk_add_f16 v90, v75, s[8:9] offset:256       // 0000000070F8: DD388100 00084B5A
	s_mov_b64 exec, s[36:37]                                   // 000000007100: BEFE0124
	s_mov_b64 exec, s[32:33]                                   // 000000007104: BEFE0120
	global_atomic_pk_add_f16 v92, v76, s[8:9]                  // 000000007108: DD388000 00084C5C
	s_mov_b64 exec, s[36:37]                                   // 000000007110: BEFE0124
	s_mov_b64 exec, s[32:33]                                   // 000000007114: BEFE0120
	global_atomic_pk_add_f16 v92, v77, s[8:9] offset:256       // 000000007118: DD388100 00084D5C
	s_mov_b64 exec, s[36:37]                                   // 000000007120: BEFE0124
	s_mov_b64 exec, s[34:35]                                   // 000000007124: BEFE0122
	global_atomic_pk_add_f16 v94, v78, s[8:9]                  // 000000007128: DD388000 00084E5E
	s_mov_b64 exec, s[36:37]                                   // 000000007130: BEFE0124
	s_mov_b64 exec, s[34:35]                                   // 000000007134: BEFE0122
	global_atomic_pk_add_f16 v94, v79, s[8:9] offset:256       // 000000007138: DD388100 00084F5E
	s_mov_b64 exec, s[36:37]                                   // 000000007140: BEFE0124
	s_add_u32 s8, s59, s8                                      // 000000007144: 8008083B
	s_addc_u32 s9, 0, s9                                       // 000000007148: 82090980
	s_addk_i32 s80, 0x100                                      // 00000000714C: B7500100
	s_cmp_lt_i32 s80, s81                                      // 000000007150: BF045150
	s_cbranch_scc0 label_10D7                                  // 000000007154: BF840001
	s_branch label_0BA0                                        // 000000007158: BF82FAC9

000000000000715c <label_10D7>:
	s_nop 0                                                    // 00000000715C: BF800000
	s_nop 0                                                    // 000000007160: BF800000
	s_branch label_1EBB                                        // 000000007164: BF820DE1

0000000000007168 <label_10DA>:
	s_waitcnt vmcnt(24) lgkmcnt(0)                             // 000000007168: BF8C4078
	s_barrier                                                  // 00000000716C: BF8A0000
	v_mfma_i32_16x16x32_i8 v[128:131], a[0:1], v[192:193], v[128:131]// 000000007170: D3D70080 0E038100
	buffer_load_dwordx4 a[128:131], v34, s[24:27], 0 offen     // 000000007178: E05C1000 80868022
	v_mfma_i32_16x16x32_i8 v[128:131], a[2:3], v[194:195], v[128:131]// 000000007180: D3D70080 0E038502
	v_mfma_i32_16x16x32_i8 v[128:131], a[4:5], v[196:197], v[128:131]// 000000007188: D3D70080 0E038904
	buffer_load_dword v26, s[20:23], 0 offen lds               // 000000007190: E0511000 8005001A
	s_add_u32 m0, 0x100, s50                                   // 000000007198: 807C32FF 00000100
	v_mfma_i32_16x16x32_i8 v[128:131], a[6:7], v[198:199], v[128:131]// 0000000071A0: D3D70080 0E038D06
	v_mfma_i32_16x16x32_i8 v[128:131], a[8:9], v[200:201], v[128:131]// 0000000071A8: D3D70080 0E039108
	buffer_load_dwordx4 a[132:135], v34, s[24:27], 0 offen offset:1024// 0000000071B0: E05C1400 80868422
	v_mfma_i32_16x16x32_i8 v[128:131], a[10:11], v[202:203], v[128:131]// 0000000071B8: D3D70080 0E03950A
	v_mfma_i32_16x16x32_i8 v[128:131], a[12:13], v[204:205], v[128:131]// 0000000071C0: D3D70080 0E03990C
	buffer_load_dword v27, s[20:23], 0 offen lds               // 0000000071C8: E0511000 8005001B
	s_add_u32 m0, 0x200, s50                                   // 0000000071D0: 807C32FF 00000200
	v_mfma_i32_16x16x32_i8 v[128:131], a[14:15], v[206:207], v[128:131]// 0000000071D8: D3D70080 0E039D0E
	v_mfma_i32_16x16x32_i8 v[132:135], a[0:1], v[208:209], v[132:135]// 0000000071E0: D3D70084 0E13A100
	buffer_load_dwordx4 a[136:139], v34, s[24:27], 0 offen offset:2048// 0000000071E8: E05C1800 80868822
	v_mfma_i32_16x16x32_i8 v[132:135], a[2:3], v[210:211], v[132:135]// 0000000071F0: D3D70084 0E13A502
	v_mfma_i32_16x16x32_i8 v[132:135], a[4:5], v[212:213], v[132:135]// 0000000071F8: D3D70084 0E13A904
	buffer_load_dword v28, s[20:23], 0 offen lds               // 000000007200: E0511000 8005001C
	s_add_u32 m0, 0x300, s50                                   // 000000007208: 807C32FF 00000300
	v_mfma_i32_16x16x32_i8 v[132:135], a[6:7], v[214:215], v[132:135]// 000000007210: D3D70084 0E13AD06
	v_mfma_i32_16x16x32_i8 v[132:135], a[8:9], v[216:217], v[132:135]// 000000007218: D3D70084 0E13B108
	buffer_load_dwordx4 a[140:143], v34, s[24:27], 0 offen offset:3072// 000000007220: E05C1C00 80868C22
	v_mfma_i32_16x16x32_i8 v[132:135], a[10:11], v[218:219], v[132:135]// 000000007228: D3D70084 0E13B50A
	v_mfma_i32_16x16x32_i8 v[132:135], a[12:13], v[220:221], v[132:135]// 000000007230: D3D70084 0E13B90C
	buffer_load_dword v29, s[20:23], 0 offen lds               // 000000007238: E0511000 8005001D
	s_add_u32 m0, 0x400, s50                                   // 000000007240: 807C32FF 00000400
	v_mfma_i32_16x16x32_i8 v[132:135], a[14:15], v[222:223], v[132:135]// 000000007248: D3D70084 0E13BD0E
	v_mfma_i32_16x16x32_i8 v[136:139], a[16:17], v[192:193], v[136:139]// 000000007250: D3D70088 0E238110
	buffer_load_dwordx4 a[144:147], v35, s[24:27], 0 offen     // 000000007258: E05C1000 80869023
	v_mfma_i32_16x16x32_i8 v[136:139], a[18:19], v[194:195], v[136:139]// 000000007260: D3D70088 0E238512
	v_mfma_i32_16x16x32_i8 v[136:139], a[20:21], v[196:197], v[136:139]// 000000007268: D3D70088 0E238914
	buffer_load_dword v30, s[20:23], 0 offen lds               // 000000007270: E0511000 8005001E
	s_add_u32 m0, 0x500, s50                                   // 000000007278: 807C32FF 00000500
	v_mfma_i32_16x16x32_i8 v[136:139], a[22:23], v[198:199], v[136:139]// 000000007280: D3D70088 0E238D16
	v_mfma_i32_16x16x32_i8 v[136:139], a[24:25], v[200:201], v[136:139]// 000000007288: D3D70088 0E239118
	buffer_load_dwordx4 a[148:151], v35, s[24:27], 0 offen offset:1024// 000000007290: E05C1400 80869423
	v_mfma_i32_16x16x32_i8 v[136:139], a[26:27], v[202:203], v[136:139]// 000000007298: D3D70088 0E23951A
	v_mfma_i32_16x16x32_i8 v[136:139], a[28:29], v[204:205], v[136:139]// 0000000072A0: D3D70088 0E23991C
	buffer_load_dword v31, s[20:23], 0 offen lds               // 0000000072A8: E0511000 8005001F
	s_add_u32 m0, 0x600, s50                                   // 0000000072B0: 807C32FF 00000600
	v_mfma_i32_16x16x32_i8 v[136:139], a[30:31], v[206:207], v[136:139]// 0000000072B8: D3D70088 0E239D1E
	v_mfma_i32_16x16x32_i8 v[140:143], a[16:17], v[208:209], v[140:143]// 0000000072C0: D3D7008C 0E33A110
	buffer_load_dwordx4 a[152:155], v35, s[24:27], 0 offen offset:2048// 0000000072C8: E05C1800 80869823
	v_mfma_i32_16x16x32_i8 v[140:143], a[18:19], v[210:211], v[140:143]// 0000000072D0: D3D7008C 0E33A512
	v_mfma_i32_16x16x32_i8 v[140:143], a[20:21], v[212:213], v[140:143]// 0000000072D8: D3D7008C 0E33A914
	buffer_load_dword v32, s[20:23], 0 offen lds               // 0000000072E0: E0511000 80050020
	s_add_u32 m0, 0x700, s50                                   // 0000000072E8: 807C32FF 00000700
	v_mfma_i32_16x16x32_i8 v[140:143], a[22:23], v[214:215], v[140:143]// 0000000072F0: D3D7008C 0E33AD16
	v_mfma_i32_16x16x32_i8 v[140:143], a[24:25], v[216:217], v[140:143]// 0000000072F8: D3D7008C 0E33B118
	buffer_load_dwordx4 a[156:159], v35, s[24:27], 0 offen offset:3072// 000000007300: E05C1C00 80869C23
	v_mfma_i32_16x16x32_i8 v[140:143], a[26:27], v[218:219], v[140:143]// 000000007308: D3D7008C 0E33B51A
	v_mfma_i32_16x16x32_i8 v[140:143], a[28:29], v[220:221], v[140:143]// 000000007310: D3D7008C 0E33B91C
	buffer_load_dword v33, s[20:23], 0 offen lds               // 000000007318: E0511000 80050021
	s_add_u32 m0, 0, s51                                       // 000000007320: 807C3380
	v_mfma_i32_16x16x32_i8 v[140:143], a[30:31], v[222:223], v[140:143]// 000000007324: D3D7008C 0E33BD1E
	s_waitcnt vmcnt(36)                                        // 00000000732C: BF8C8F74
	v_mfma_i32_16x16x32_i8 v[144:147], a[32:33], v[192:193], v[144:147]// 000000007330: D3D70090 0E438120
	buffer_load_dwordx4 a[160:163], v36, s[24:27], 0 offen     // 000000007338: E05C1000 8086A024
	v_mfma_i32_16x16x32_i8 v[144:147], a[34:35], v[194:195], v[144:147]// 000000007340: D3D70090 0E438522
	v_mfma_i32_16x16x32_i8 v[144:147], a[36:37], v[196:197], v[144:147]// 000000007348: D3D70090 0E438924
	ds_read_b128 v[224:227], v2 offset:8320                    // 000000007350: D9FE2080 E0000002
	v_mfma_i32_16x16x32_i8 v[144:147], a[38:39], v[198:199], v[144:147]// 000000007358: D3D70090 0E438D26
	v_mfma_i32_16x16x32_i8 v[144:147], a[40:41], v[200:201], v[144:147]// 000000007360: D3D70090 0E439128
	buffer_load_dwordx4 a[164:167], v36, s[24:27], 0 offen offset:1024// 000000007368: E05C1400 8086A424
	v_mfma_i32_16x16x32_i8 v[144:147], a[42:43], v[202:203], v[144:147]// 000000007370: D3D70090 0E43952A
	v_mfma_i32_16x16x32_i8 v[144:147], a[44:45], v[204:205], v[144:147]// 000000007378: D3D70090 0E43992C
	ds_read_b128 v[228:231], v2 offset:8384                    // 000000007380: D9FE20C0 E4000002
	v_mfma_i32_16x16x32_i8 v[144:147], a[46:47], v[206:207], v[144:147]// 000000007388: D3D70090 0E439D2E
	v_mfma_i32_16x16x32_i8 v[148:151], a[32:33], v[208:209], v[148:151]// 000000007390: D3D70094 0E53A120
	buffer_load_dwordx4 a[168:171], v36, s[24:27], 0 offen offset:2048// 000000007398: E05C1800 8086A824
	v_mfma_i32_16x16x32_i8 v[148:151], a[34:35], v[210:211], v[148:151]// 0000000073A0: D3D70094 0E53A522
	v_mfma_i32_16x16x32_i8 v[148:151], a[36:37], v[212:213], v[148:151]// 0000000073A8: D3D70094 0E53A924
	ds_read_b128 v[232:235], v2 offset:8448                    // 0000000073B0: D9FE2100 E8000002
	v_mfma_i32_16x16x32_i8 v[148:151], a[38:39], v[214:215], v[148:151]// 0000000073B8: D3D70094 0E53AD26
	v_mfma_i32_16x16x32_i8 v[148:151], a[40:41], v[216:217], v[148:151]// 0000000073C0: D3D70094 0E53B128
	buffer_load_dwordx4 a[172:175], v36, s[24:27], 0 offen offset:3072// 0000000073C8: E05C1C00 8086AC24
	v_mfma_i32_16x16x32_i8 v[148:151], a[42:43], v[218:219], v[148:151]// 0000000073D0: D3D70094 0E53B52A
	v_mfma_i32_16x16x32_i8 v[148:151], a[44:45], v[220:221], v[148:151]// 0000000073D8: D3D70094 0E53B92C
	ds_read_b128 v[236:239], v2 offset:8512                    // 0000000073E0: D9FE2140 EC000002
	v_mfma_i32_16x16x32_i8 v[148:151], a[46:47], v[222:223], v[148:151]// 0000000073E8: D3D70094 0E53BD2E
	s_waitcnt vmcnt(36)                                        // 0000000073F0: BF8C8F74
	v_mfma_i32_16x16x32_i8 v[152:155], a[48:49], v[192:193], v[152:155]// 0000000073F4: D3D70098 0E638130
	buffer_load_dwordx4 a[176:179], v37, s[24:27], 0 offen     // 0000000073FC: E05C1000 8086B025
	v_mfma_i32_16x16x32_i8 v[152:155], a[50:51], v[194:195], v[152:155]// 000000007404: D3D70098 0E638532
	v_mfma_i32_16x16x32_i8 v[152:155], a[52:53], v[196:197], v[152:155]// 00000000740C: D3D70098 0E638934
	ds_read_b128 v[240:243], v2 offset:9344                    // 000000007414: D9FE2480 F0000002
	v_mfma_i32_16x16x32_i8 v[152:155], a[54:55], v[198:199], v[152:155]// 00000000741C: D3D70098 0E638D36
	v_mfma_i32_16x16x32_i8 v[152:155], a[56:57], v[200:201], v[152:155]// 000000007424: D3D70098 0E639138
	buffer_load_dwordx4 a[180:183], v37, s[24:27], 0 offen offset:1024// 00000000742C: E05C1400 8086B425
	v_mfma_i32_16x16x32_i8 v[152:155], a[58:59], v[202:203], v[152:155]// 000000007434: D3D70098 0E63953A
	v_mfma_i32_16x16x32_i8 v[152:155], a[60:61], v[204:205], v[152:155]// 00000000743C: D3D70098 0E63993C
	ds_read_b128 v[244:247], v2 offset:9408                    // 000000007444: D9FE24C0 F4000002
	v_mfma_i32_16x16x32_i8 v[152:155], a[62:63], v[206:207], v[152:155]// 00000000744C: D3D70098 0E639D3E
	v_mfma_i32_16x16x32_i8 v[156:159], a[48:49], v[208:209], v[156:159]// 000000007454: D3D7009C 0E73A130
	buffer_load_dwordx4 a[184:187], v37, s[24:27], 0 offen offset:2048// 00000000745C: E05C1800 8086B825
	v_mfma_i32_16x16x32_i8 v[156:159], a[50:51], v[210:211], v[156:159]// 000000007464: D3D7009C 0E73A532
	v_mfma_i32_16x16x32_i8 v[156:159], a[52:53], v[212:213], v[156:159]// 00000000746C: D3D7009C 0E73A934
	ds_read_b128 v[248:251], v2 offset:9472                    // 000000007474: D9FE2500 F8000002
	v_mfma_i32_16x16x32_i8 v[156:159], a[54:55], v[214:215], v[156:159]// 00000000747C: D3D7009C 0E73AD36
	v_mfma_i32_16x16x32_i8 v[156:159], a[56:57], v[216:217], v[156:159]// 000000007484: D3D7009C 0E73B138
	buffer_load_dwordx4 a[188:191], v37, s[24:27], 0 offen offset:3072// 00000000748C: E05C1C00 8086BC25
	v_mfma_i32_16x16x32_i8 v[156:159], a[58:59], v[218:219], v[156:159]// 000000007494: D3D7009C 0E73B53A
	v_mfma_i32_16x16x32_i8 v[156:159], a[60:61], v[220:221], v[156:159]// 00000000749C: D3D7009C 0E73B93C
	ds_read_b128 v[252:255], v2 offset:9536                    // 0000000074A4: D9FE2540 FC000002
	v_mfma_i32_16x16x32_i8 v[156:159], a[62:63], v[222:223], v[156:159]// 0000000074AC: D3D7009C 0E73BD3E
	s_waitcnt vmcnt(36)                                        // 0000000074B4: BF8C8F74
	v_mfma_i32_16x16x32_i8 v[160:163], a[64:65], v[192:193], v[160:163]// 0000000074B8: D3D700A0 0E838140
	buffer_load_dwordx4 a[192:195], v38, s[24:27], 0 offen     // 0000000074C0: E05C1000 8086C026
	v_mfma_i32_16x16x32_i8 v[160:163], a[66:67], v[194:195], v[160:163]// 0000000074C8: D3D700A0 0E838542
	v_mfma_i32_16x16x32_i8 v[160:163], a[68:69], v[196:197], v[160:163]// 0000000074D0: D3D700A0 0E838944
	v_mfma_i32_16x16x32_i8 v[160:163], a[70:71], v[198:199], v[160:163]// 0000000074D8: D3D700A0 0E838D46
	v_mfma_i32_16x16x32_i8 v[160:163], a[72:73], v[200:201], v[160:163]// 0000000074E0: D3D700A0 0E839148
	buffer_load_dwordx4 a[196:199], v38, s[24:27], 0 offen offset:1024// 0000000074E8: E05C1400 8086C426
	v_mfma_i32_16x16x32_i8 v[160:163], a[74:75], v[202:203], v[160:163]// 0000000074F0: D3D700A0 0E83954A
	v_mfma_i32_16x16x32_i8 v[160:163], a[76:77], v[204:205], v[160:163]// 0000000074F8: D3D700A0 0E83994C
	v_mfma_i32_16x16x32_i8 v[160:163], a[78:79], v[206:207], v[160:163]// 000000007500: D3D700A0 0E839D4E
	v_mfma_i32_16x16x32_i8 v[164:167], a[64:65], v[208:209], v[164:167]// 000000007508: D3D700A4 0E93A140
	buffer_load_dwordx4 a[200:203], v38, s[24:27], 0 offen offset:2048// 000000007510: E05C1800 8086C826
	v_mfma_i32_16x16x32_i8 v[164:167], a[66:67], v[210:211], v[164:167]// 000000007518: D3D700A4 0E93A542
	v_mfma_i32_16x16x32_i8 v[164:167], a[68:69], v[212:213], v[164:167]// 000000007520: D3D700A4 0E93A944
	v_mfma_i32_16x16x32_i8 v[164:167], a[70:71], v[214:215], v[164:167]// 000000007528: D3D700A4 0E93AD46
	v_mfma_i32_16x16x32_i8 v[164:167], a[72:73], v[216:217], v[164:167]// 000000007530: D3D700A4 0E93B148
	buffer_load_dwordx4 a[204:207], v38, s[24:27], 0 offen offset:3072// 000000007538: E05C1C00 8086CC26
	v_mfma_i32_16x16x32_i8 v[164:167], a[74:75], v[218:219], v[164:167]// 000000007540: D3D700A4 0E93B54A
	v_mfma_i32_16x16x32_i8 v[164:167], a[76:77], v[220:221], v[164:167]// 000000007548: D3D700A4 0E93B94C
	v_mfma_i32_16x16x32_i8 v[164:167], a[78:79], v[222:223], v[164:167]// 000000007550: D3D700A4 0E93BD4E
	s_waitcnt vmcnt(36)                                        // 000000007558: BF8C8F74
	v_mfma_i32_16x16x32_i8 v[168:171], a[80:81], v[192:193], v[168:171]// 00000000755C: D3D700A8 0EA38150
	buffer_load_dwordx4 a[208:211], v39, s[24:27], 0 offen     // 000000007564: E05C1000 8086D027
	v_mfma_i32_16x16x32_i8 v[168:171], a[82:83], v[194:195], v[168:171]// 00000000756C: D3D700A8 0EA38552
	v_mfma_i32_16x16x32_i8 v[168:171], a[84:85], v[196:197], v[168:171]// 000000007574: D3D700A8 0EA38954
	v_mfma_i32_16x16x32_i8 v[168:171], a[86:87], v[198:199], v[168:171]// 00000000757C: D3D700A8 0EA38D56
	v_mfma_i32_16x16x32_i8 v[168:171], a[88:89], v[200:201], v[168:171]// 000000007584: D3D700A8 0EA39158
	buffer_load_dwordx4 a[212:215], v39, s[24:27], 0 offen offset:1024// 00000000758C: E05C1400 8086D427
	v_mfma_i32_16x16x32_i8 v[168:171], a[90:91], v[202:203], v[168:171]// 000000007594: D3D700A8 0EA3955A
	v_mfma_i32_16x16x32_i8 v[168:171], a[92:93], v[204:205], v[168:171]// 00000000759C: D3D700A8 0EA3995C
	v_mfma_i32_16x16x32_i8 v[168:171], a[94:95], v[206:207], v[168:171]// 0000000075A4: D3D700A8 0EA39D5E
	v_mfma_i32_16x16x32_i8 v[172:175], a[80:81], v[208:209], v[172:175]// 0000000075AC: D3D700AC 0EB3A150
	buffer_load_dwordx4 a[216:219], v39, s[24:27], 0 offen offset:2048// 0000000075B4: E05C1800 8086D827
	v_mfma_i32_16x16x32_i8 v[172:175], a[82:83], v[210:211], v[172:175]// 0000000075BC: D3D700AC 0EB3A552
	v_mfma_i32_16x16x32_i8 v[172:175], a[84:85], v[212:213], v[172:175]// 0000000075C4: D3D700AC 0EB3A954
	v_mfma_i32_16x16x32_i8 v[172:175], a[86:87], v[214:215], v[172:175]// 0000000075CC: D3D700AC 0EB3AD56
	v_mfma_i32_16x16x32_i8 v[172:175], a[88:89], v[216:217], v[172:175]// 0000000075D4: D3D700AC 0EB3B158
	buffer_load_dwordx4 a[220:223], v39, s[24:27], 0 offen offset:3072// 0000000075DC: E05C1C00 8086DC27
	v_mfma_i32_16x16x32_i8 v[172:175], a[90:91], v[218:219], v[172:175]// 0000000075E4: D3D700AC 0EB3B55A
	v_mfma_i32_16x16x32_i8 v[172:175], a[92:93], v[220:221], v[172:175]// 0000000075EC: D3D700AC 0EB3B95C
	v_mfma_i32_16x16x32_i8 v[172:175], a[94:95], v[222:223], v[172:175]// 0000000075F4: D3D700AC 0EB3BD5E
	s_waitcnt vmcnt(36)                                        // 0000000075FC: BF8C8F74
	v_mfma_i32_16x16x32_i8 v[176:179], a[96:97], v[192:193], v[176:179]// 000000007600: D3D700B0 0EC38160
	buffer_load_dwordx4 a[224:227], v40, s[24:27], 0 offen     // 000000007608: E05C1000 8086E028
	v_mfma_i32_16x16x32_i8 v[176:179], a[98:99], v[194:195], v[176:179]// 000000007610: D3D700B0 0EC38562
	v_mfma_i32_16x16x32_i8 v[176:179], a[100:101], v[196:197], v[176:179]// 000000007618: D3D700B0 0EC38964
	v_mfma_i32_16x16x32_i8 v[176:179], a[102:103], v[198:199], v[176:179]// 000000007620: D3D700B0 0EC38D66
	v_mfma_i32_16x16x32_i8 v[176:179], a[104:105], v[200:201], v[176:179]// 000000007628: D3D700B0 0EC39168
	buffer_load_dwordx4 a[228:231], v40, s[24:27], 0 offen offset:1024// 000000007630: E05C1400 8086E428
	v_mfma_i32_16x16x32_i8 v[176:179], a[106:107], v[202:203], v[176:179]// 000000007638: D3D700B0 0EC3956A
	v_mfma_i32_16x16x32_i8 v[176:179], a[108:109], v[204:205], v[176:179]// 000000007640: D3D700B0 0EC3996C
	v_mfma_i32_16x16x32_i8 v[176:179], a[110:111], v[206:207], v[176:179]// 000000007648: D3D700B0 0EC39D6E
	v_mfma_i32_16x16x32_i8 v[180:183], a[96:97], v[208:209], v[180:183]// 000000007650: D3D700B4 0ED3A160
	buffer_load_dwordx4 a[232:235], v40, s[24:27], 0 offen offset:2048// 000000007658: E05C1800 8086E828
	v_mfma_i32_16x16x32_i8 v[180:183], a[98:99], v[210:211], v[180:183]// 000000007660: D3D700B4 0ED3A562
	v_mfma_i32_16x16x32_i8 v[180:183], a[100:101], v[212:213], v[180:183]// 000000007668: D3D700B4 0ED3A964
	v_mfma_i32_16x16x32_i8 v[180:183], a[102:103], v[214:215], v[180:183]// 000000007670: D3D700B4 0ED3AD66
	v_mfma_i32_16x16x32_i8 v[180:183], a[104:105], v[216:217], v[180:183]// 000000007678: D3D700B4 0ED3B168
	buffer_load_dwordx4 a[236:239], v40, s[24:27], 0 offen offset:3072// 000000007680: E05C1C00 8086EC28
	v_mfma_i32_16x16x32_i8 v[180:183], a[106:107], v[218:219], v[180:183]// 000000007688: D3D700B4 0ED3B56A
	v_mfma_i32_16x16x32_i8 v[180:183], a[108:109], v[220:221], v[180:183]// 000000007690: D3D700B4 0ED3B96C
	v_mfma_i32_16x16x32_i8 v[180:183], a[110:111], v[222:223], v[180:183]// 000000007698: D3D700B4 0ED3BD6E
	s_waitcnt vmcnt(36)                                        // 0000000076A0: BF8C8F74
	v_mfma_i32_16x16x32_i8 v[184:187], a[112:113], v[192:193], v[184:187]// 0000000076A4: D3D700B8 0EE38170
	buffer_load_dwordx4 a[240:243], v41, s[24:27], 0 offen     // 0000000076AC: E05C1000 8086F029
	v_mfma_i32_16x16x32_i8 v[184:187], a[114:115], v[194:195], v[184:187]// 0000000076B4: D3D700B8 0EE38572
	v_mfma_i32_16x16x32_i8 v[184:187], a[116:117], v[196:197], v[184:187]// 0000000076BC: D3D700B8 0EE38974
	v_mfma_i32_16x16x32_i8 v[184:187], a[118:119], v[198:199], v[184:187]// 0000000076C4: D3D700B8 0EE38D76
	v_mfma_i32_16x16x32_i8 v[184:187], a[120:121], v[200:201], v[184:187]// 0000000076CC: D3D700B8 0EE39178
	buffer_load_dwordx4 a[244:247], v41, s[24:27], 0 offen offset:1024// 0000000076D4: E05C1400 8086F429
	v_mfma_i32_16x16x32_i8 v[184:187], a[122:123], v[202:203], v[184:187]// 0000000076DC: D3D700B8 0EE3957A
	v_mfma_i32_16x16x32_i8 v[184:187], a[124:125], v[204:205], v[184:187]// 0000000076E4: D3D700B8 0EE3997C
	v_mfma_i32_16x16x32_i8 v[184:187], a[126:127], v[206:207], v[184:187]// 0000000076EC: D3D700B8 0EE39D7E
	v_mfma_i32_16x16x32_i8 v[188:191], a[112:113], v[208:209], v[188:191]// 0000000076F4: D3D700BC 0EF3A170
	buffer_load_dwordx4 a[248:251], v41, s[24:27], 0 offen offset:2048// 0000000076FC: E05C1800 8086F829
	v_mfma_i32_16x16x32_i8 v[188:191], a[114:115], v[210:211], v[188:191]// 000000007704: D3D700BC 0EF3A572
	v_mfma_i32_16x16x32_i8 v[188:191], a[116:117], v[212:213], v[188:191]// 00000000770C: D3D700BC 0EF3A974
	v_mfma_i32_16x16x32_i8 v[188:191], a[118:119], v[214:215], v[188:191]// 000000007714: D3D700BC 0EF3AD76
	v_mfma_i32_16x16x32_i8 v[188:191], a[120:121], v[216:217], v[188:191]// 00000000771C: D3D700BC 0EF3B178
	buffer_load_dwordx4 a[252:255], v41, s[24:27], 0 offen offset:3072// 000000007724: E05C1C00 8086FC29
	v_mfma_i32_16x16x32_i8 v[188:191], a[122:123], v[218:219], v[188:191]// 00000000772C: D3D700BC 0EF3B57A
	v_mfma_i32_16x16x32_i8 v[188:191], a[124:125], v[220:221], v[188:191]// 000000007734: D3D700BC 0EF3B97C
	v_mfma_i32_16x16x32_i8 v[188:191], a[126:127], v[222:223], v[188:191]// 00000000773C: D3D700BC 0EF3BD7E
	s_add_u32 s60, 0x300, s80                                  // 000000007744: 803C50FF 00000300
	s_cmp_lt_u32 s60, s81                                      // 00000000774C: BF0A513C
	s_cselect_b32 s57, s57, 0                                  // 000000007750: 85398039
	s_add_u32 s60, 0x200, s80                                  // 000000007754: 803C50FF 00000200
	s_cmp_lt_u32 s60, s81                                      // 00000000775C: BF0A513C
	s_cselect_b32 s58, s58, 0                                  // 000000007760: 853A803A
	s_add_u32 s20, s57, s20                                    // 000000007764: 80141439
	s_addc_u32 s21, 0, s21                                     // 000000007768: 82151580
	s_add_u32 s24, s58, s24                                    // 00000000776C: 8018183A
	s_addc_u32 s25, 0, s25                                     // 000000007770: 82191980
	s_addk_i32 s80, 0x100                                      // 000000007774: B7500100
	s_cmp_lt_i32 s80, s81                                      // 000000007778: BF045150
	s_cbranch_scc0 label_13E7                                  // 00000000777C: BF840187
	s_waitcnt vmcnt(24) lgkmcnt(0)                             // 000000007780: BF8C4078
	s_barrier                                                  // 000000007784: BF8A0000
	v_mfma_i32_16x16x32_i8 v[128:131], a[128:129], v[224:225], v[128:131]// 000000007788: D3D70080 0E03C180
	buffer_load_dwordx4 a[0:3], v34, s[24:27], 0 offen         // 000000007790: E05C1000 80860022
	v_mfma_i32_16x16x32_i8 v[128:131], a[130:131], v[226:227], v[128:131]// 000000007798: D3D70080 0E03C582
	v_mfma_i32_16x16x32_i8 v[128:131], a[132:133], v[228:229], v[128:131]// 0000000077A0: D3D70080 0E03C984
	buffer_load_dword v26, s[20:23], 0 offen lds               // 0000000077A8: E0511000 8005001A
	s_add_u32 m0, 0x100, s51                                   // 0000000077B0: 807C33FF 00000100
	v_mfma_i32_16x16x32_i8 v[128:131], a[134:135], v[230:231], v[128:131]// 0000000077B8: D3D70080 0E03CD86
	v_mfma_i32_16x16x32_i8 v[128:131], a[136:137], v[232:233], v[128:131]// 0000000077C0: D3D70080 0E03D188
	buffer_load_dwordx4 a[4:7], v34, s[24:27], 0 offen offset:1024// 0000000077C8: E05C1400 80860422
	v_mfma_i32_16x16x32_i8 v[128:131], a[138:139], v[234:235], v[128:131]// 0000000077D0: D3D70080 0E03D58A
	v_mfma_i32_16x16x32_i8 v[128:131], a[140:141], v[236:237], v[128:131]// 0000000077D8: D3D70080 0E03D98C
	buffer_load_dword v27, s[20:23], 0 offen lds               // 0000000077E0: E0511000 8005001B
	s_add_u32 m0, 0x200, s51                                   // 0000000077E8: 807C33FF 00000200
	v_mfma_i32_16x16x32_i8 v[128:131], a[142:143], v[238:239], v[128:131]// 0000000077F0: D3D70080 0E03DD8E
	v_mfma_i32_16x16x32_i8 v[132:135], a[128:129], v[240:241], v[132:135]// 0000000077F8: D3D70084 0E13E180
	buffer_load_dwordx4 a[8:11], v34, s[24:27], 0 offen offset:2048// 000000007800: E05C1800 80860822
	v_mfma_i32_16x16x32_i8 v[132:135], a[130:131], v[242:243], v[132:135]// 000000007808: D3D70084 0E13E582
	v_mfma_i32_16x16x32_i8 v[132:135], a[132:133], v[244:245], v[132:135]// 000000007810: D3D70084 0E13E984
	buffer_load_dword v28, s[20:23], 0 offen lds               // 000000007818: E0511000 8005001C
	s_add_u32 m0, 0x300, s51                                   // 000000007820: 807C33FF 00000300
	v_mfma_i32_16x16x32_i8 v[132:135], a[134:135], v[246:247], v[132:135]// 000000007828: D3D70084 0E13ED86
	v_mfma_i32_16x16x32_i8 v[132:135], a[136:137], v[248:249], v[132:135]// 000000007830: D3D70084 0E13F188
	buffer_load_dwordx4 a[12:15], v34, s[24:27], 0 offen offset:3072// 000000007838: E05C1C00 80860C22
	v_mfma_i32_16x16x32_i8 v[132:135], a[138:139], v[250:251], v[132:135]// 000000007840: D3D70084 0E13F58A
	v_mfma_i32_16x16x32_i8 v[132:135], a[140:141], v[252:253], v[132:135]// 000000007848: D3D70084 0E13F98C
	buffer_load_dword v29, s[20:23], 0 offen lds               // 000000007850: E0511000 8005001D
	s_add_u32 m0, 0x400, s51                                   // 000000007858: 807C33FF 00000400
	v_mfma_i32_16x16x32_i8 v[132:135], a[142:143], v[254:255], v[132:135]// 000000007860: D3D70084 0E13FD8E
	v_mfma_i32_16x16x32_i8 v[136:139], a[144:145], v[224:225], v[136:139]// 000000007868: D3D70088 0E23C190
	buffer_load_dwordx4 a[16:19], v35, s[24:27], 0 offen       // 000000007870: E05C1000 80861023
	v_mfma_i32_16x16x32_i8 v[136:139], a[146:147], v[226:227], v[136:139]// 000000007878: D3D70088 0E23C592
	v_mfma_i32_16x16x32_i8 v[136:139], a[148:149], v[228:229], v[136:139]// 000000007880: D3D70088 0E23C994
	buffer_load_dword v30, s[20:23], 0 offen lds               // 000000007888: E0511000 8005001E
	s_add_u32 m0, 0x500, s51                                   // 000000007890: 807C33FF 00000500
	v_mfma_i32_16x16x32_i8 v[136:139], a[150:151], v[230:231], v[136:139]// 000000007898: D3D70088 0E23CD96
	v_mfma_i32_16x16x32_i8 v[136:139], a[152:153], v[232:233], v[136:139]// 0000000078A0: D3D70088 0E23D198
	buffer_load_dwordx4 a[20:23], v35, s[24:27], 0 offen offset:1024// 0000000078A8: E05C1400 80861423
	v_mfma_i32_16x16x32_i8 v[136:139], a[154:155], v[234:235], v[136:139]// 0000000078B0: D3D70088 0E23D59A
	v_mfma_i32_16x16x32_i8 v[136:139], a[156:157], v[236:237], v[136:139]// 0000000078B8: D3D70088 0E23D99C
	buffer_load_dword v31, s[20:23], 0 offen lds               // 0000000078C0: E0511000 8005001F
	s_add_u32 m0, 0x600, s51                                   // 0000000078C8: 807C33FF 00000600
	v_mfma_i32_16x16x32_i8 v[136:139], a[158:159], v[238:239], v[136:139]// 0000000078D0: D3D70088 0E23DD9E
	v_mfma_i32_16x16x32_i8 v[140:143], a[144:145], v[240:241], v[140:143]// 0000000078D8: D3D7008C 0E33E190
	buffer_load_dwordx4 a[24:27], v35, s[24:27], 0 offen offset:2048// 0000000078E0: E05C1800 80861823
	v_mfma_i32_16x16x32_i8 v[140:143], a[146:147], v[242:243], v[140:143]// 0000000078E8: D3D7008C 0E33E592
	v_mfma_i32_16x16x32_i8 v[140:143], a[148:149], v[244:245], v[140:143]// 0000000078F0: D3D7008C 0E33E994
	buffer_load_dword v32, s[20:23], 0 offen lds               // 0000000078F8: E0511000 80050020
	s_add_u32 m0, 0x700, s51                                   // 000000007900: 807C33FF 00000700
	v_mfma_i32_16x16x32_i8 v[140:143], a[150:151], v[246:247], v[140:143]// 000000007908: D3D7008C 0E33ED96
	v_mfma_i32_16x16x32_i8 v[140:143], a[152:153], v[248:249], v[140:143]// 000000007910: D3D7008C 0E33F198
	buffer_load_dwordx4 a[28:31], v35, s[24:27], 0 offen offset:3072// 000000007918: E05C1C00 80861C23
	v_mfma_i32_16x16x32_i8 v[140:143], a[154:155], v[250:251], v[140:143]// 000000007920: D3D7008C 0E33F59A
	v_mfma_i32_16x16x32_i8 v[140:143], a[156:157], v[252:253], v[140:143]// 000000007928: D3D7008C 0E33F99C
	buffer_load_dword v33, s[20:23], 0 offen lds               // 000000007930: E0511000 80050021
	s_add_u32 m0, 0, s50                                       // 000000007938: 807C3280
	v_mfma_i32_16x16x32_i8 v[140:143], a[158:159], v[254:255], v[140:143]// 00000000793C: D3D7008C 0E33FD9E
	s_waitcnt vmcnt(36)                                        // 000000007944: BF8C8F74
	v_mfma_i32_16x16x32_i8 v[144:147], a[160:161], v[224:225], v[144:147]// 000000007948: D3D70090 0E43C1A0
	buffer_load_dwordx4 a[32:35], v36, s[24:27], 0 offen       // 000000007950: E05C1000 80862024
	v_mfma_i32_16x16x32_i8 v[144:147], a[162:163], v[226:227], v[144:147]// 000000007958: D3D70090 0E43C5A2
	v_mfma_i32_16x16x32_i8 v[144:147], a[164:165], v[228:229], v[144:147]// 000000007960: D3D70090 0E43C9A4
	ds_read_b128 v[192:195], v2                                // 000000007968: D9FE0000 C0000002
	v_mfma_i32_16x16x32_i8 v[144:147], a[166:167], v[230:231], v[144:147]// 000000007970: D3D70090 0E43CDA6
	v_mfma_i32_16x16x32_i8 v[144:147], a[168:169], v[232:233], v[144:147]// 000000007978: D3D70090 0E43D1A8
	buffer_load_dwordx4 a[36:39], v36, s[24:27], 0 offen offset:1024// 000000007980: E05C1400 80862424
	v_mfma_i32_16x16x32_i8 v[144:147], a[170:171], v[234:235], v[144:147]// 000000007988: D3D70090 0E43D5AA
	v_mfma_i32_16x16x32_i8 v[144:147], a[172:173], v[236:237], v[144:147]// 000000007990: D3D70090 0E43D9AC
	ds_read_b128 v[196:199], v2 offset:64                      // 000000007998: D9FE0040 C4000002
	v_mfma_i32_16x16x32_i8 v[144:147], a[174:175], v[238:239], v[144:147]// 0000000079A0: D3D70090 0E43DDAE
	v_mfma_i32_16x16x32_i8 v[148:151], a[160:161], v[240:241], v[148:151]// 0000000079A8: D3D70094 0E53E1A0
	buffer_load_dwordx4 a[40:43], v36, s[24:27], 0 offen offset:2048// 0000000079B0: E05C1800 80862824
	v_mfma_i32_16x16x32_i8 v[148:151], a[162:163], v[242:243], v[148:151]// 0000000079B8: D3D70094 0E53E5A2
	v_mfma_i32_16x16x32_i8 v[148:151], a[164:165], v[244:245], v[148:151]// 0000000079C0: D3D70094 0E53E9A4
	ds_read_b128 v[200:203], v2 offset:128                     // 0000000079C8: D9FE0080 C8000002
	v_mfma_i32_16x16x32_i8 v[148:151], a[166:167], v[246:247], v[148:151]// 0000000079D0: D3D70094 0E53EDA6
	v_mfma_i32_16x16x32_i8 v[148:151], a[168:169], v[248:249], v[148:151]// 0000000079D8: D3D70094 0E53F1A8
	buffer_load_dwordx4 a[44:47], v36, s[24:27], 0 offen offset:3072// 0000000079E0: E05C1C00 80862C24
	v_mfma_i32_16x16x32_i8 v[148:151], a[170:171], v[250:251], v[148:151]// 0000000079E8: D3D70094 0E53F5AA
	v_mfma_i32_16x16x32_i8 v[148:151], a[172:173], v[252:253], v[148:151]// 0000000079F0: D3D70094 0E53F9AC
	ds_read_b128 v[204:207], v2 offset:192                     // 0000000079F8: D9FE00C0 CC000002
	v_mfma_i32_16x16x32_i8 v[148:151], a[174:175], v[254:255], v[148:151]// 000000007A00: D3D70094 0E53FDAE
	s_waitcnt vmcnt(36)                                        // 000000007A08: BF8C8F74
	v_mfma_i32_16x16x32_i8 v[152:155], a[176:177], v[224:225], v[152:155]// 000000007A0C: D3D70098 0E63C1B0
	buffer_load_dwordx4 a[48:51], v37, s[24:27], 0 offen       // 000000007A14: E05C1000 80863025
	v_mfma_i32_16x16x32_i8 v[152:155], a[178:179], v[226:227], v[152:155]// 000000007A1C: D3D70098 0E63C5B2
	v_mfma_i32_16x16x32_i8 v[152:155], a[180:181], v[228:229], v[152:155]// 000000007A24: D3D70098 0E63C9B4
	ds_read_b128 v[208:211], v2 offset:1024                    // 000000007A2C: D9FE0400 D0000002
	v_mfma_i32_16x16x32_i8 v[152:155], a[182:183], v[230:231], v[152:155]// 000000007A34: D3D70098 0E63CDB6
	v_mfma_i32_16x16x32_i8 v[152:155], a[184:185], v[232:233], v[152:155]// 000000007A3C: D3D70098 0E63D1B8
	buffer_load_dwordx4 a[52:55], v37, s[24:27], 0 offen offset:1024// 000000007A44: E05C1400 80863425
	v_mfma_i32_16x16x32_i8 v[152:155], a[186:187], v[234:235], v[152:155]// 000000007A4C: D3D70098 0E63D5BA
	v_mfma_i32_16x16x32_i8 v[152:155], a[188:189], v[236:237], v[152:155]// 000000007A54: D3D70098 0E63D9BC
	ds_read_b128 v[212:215], v2 offset:1088                    // 000000007A5C: D9FE0440 D4000002
	v_mfma_i32_16x16x32_i8 v[152:155], a[190:191], v[238:239], v[152:155]// 000000007A64: D3D70098 0E63DDBE
	v_mfma_i32_16x16x32_i8 v[156:159], a[176:177], v[240:241], v[156:159]// 000000007A6C: D3D7009C 0E73E1B0
	buffer_load_dwordx4 a[56:59], v37, s[24:27], 0 offen offset:2048// 000000007A74: E05C1800 80863825
	v_mfma_i32_16x16x32_i8 v[156:159], a[178:179], v[242:243], v[156:159]// 000000007A7C: D3D7009C 0E73E5B2
	v_mfma_i32_16x16x32_i8 v[156:159], a[180:181], v[244:245], v[156:159]// 000000007A84: D3D7009C 0E73E9B4
	ds_read_b128 v[216:219], v2 offset:1152                    // 000000007A8C: D9FE0480 D8000002
	v_mfma_i32_16x16x32_i8 v[156:159], a[182:183], v[246:247], v[156:159]// 000000007A94: D3D7009C 0E73EDB6
	v_mfma_i32_16x16x32_i8 v[156:159], a[184:185], v[248:249], v[156:159]// 000000007A9C: D3D7009C 0E73F1B8
	buffer_load_dwordx4 a[60:63], v37, s[24:27], 0 offen offset:3072// 000000007AA4: E05C1C00 80863C25
	v_mfma_i32_16x16x32_i8 v[156:159], a[186:187], v[250:251], v[156:159]// 000000007AAC: D3D7009C 0E73F5BA
	v_mfma_i32_16x16x32_i8 v[156:159], a[188:189], v[252:253], v[156:159]// 000000007AB4: D3D7009C 0E73F9BC
	ds_read_b128 v[220:223], v2 offset:1216                    // 000000007ABC: D9FE04C0 DC000002
	v_mfma_i32_16x16x32_i8 v[156:159], a[190:191], v[254:255], v[156:159]// 000000007AC4: D3D7009C 0E73FDBE
	s_waitcnt vmcnt(36)                                        // 000000007ACC: BF8C8F74
	v_mfma_i32_16x16x32_i8 v[160:163], a[192:193], v[224:225], v[160:163]// 000000007AD0: D3D700A0 0E83C1C0
	buffer_load_dwordx4 a[64:67], v38, s[24:27], 0 offen       // 000000007AD8: E05C1000 80864026
	v_mfma_i32_16x16x32_i8 v[160:163], a[194:195], v[226:227], v[160:163]// 000000007AE0: D3D700A0 0E83C5C2
	v_mfma_i32_16x16x32_i8 v[160:163], a[196:197], v[228:229], v[160:163]// 000000007AE8: D3D700A0 0E83C9C4
	v_mfma_i32_16x16x32_i8 v[160:163], a[198:199], v[230:231], v[160:163]// 000000007AF0: D3D700A0 0E83CDC6
	v_mfma_i32_16x16x32_i8 v[160:163], a[200:201], v[232:233], v[160:163]// 000000007AF8: D3D700A0 0E83D1C8
	buffer_load_dwordx4 a[68:71], v38, s[24:27], 0 offen offset:1024// 000000007B00: E05C1400 80864426
	v_mfma_i32_16x16x32_i8 v[160:163], a[202:203], v[234:235], v[160:163]// 000000007B08: D3D700A0 0E83D5CA
	v_mfma_i32_16x16x32_i8 v[160:163], a[204:205], v[236:237], v[160:163]// 000000007B10: D3D700A0 0E83D9CC
	v_mfma_i32_16x16x32_i8 v[160:163], a[206:207], v[238:239], v[160:163]// 000000007B18: D3D700A0 0E83DDCE
	v_mfma_i32_16x16x32_i8 v[164:167], a[192:193], v[240:241], v[164:167]// 000000007B20: D3D700A4 0E93E1C0
	buffer_load_dwordx4 a[72:75], v38, s[24:27], 0 offen offset:2048// 000000007B28: E05C1800 80864826
	v_mfma_i32_16x16x32_i8 v[164:167], a[194:195], v[242:243], v[164:167]// 000000007B30: D3D700A4 0E93E5C2
	v_mfma_i32_16x16x32_i8 v[164:167], a[196:197], v[244:245], v[164:167]// 000000007B38: D3D700A4 0E93E9C4
	v_mfma_i32_16x16x32_i8 v[164:167], a[198:199], v[246:247], v[164:167]// 000000007B40: D3D700A4 0E93EDC6
	v_mfma_i32_16x16x32_i8 v[164:167], a[200:201], v[248:249], v[164:167]// 000000007B48: D3D700A4 0E93F1C8
	buffer_load_dwordx4 a[76:79], v38, s[24:27], 0 offen offset:3072// 000000007B50: E05C1C00 80864C26
	v_mfma_i32_16x16x32_i8 v[164:167], a[202:203], v[250:251], v[164:167]// 000000007B58: D3D700A4 0E93F5CA
	v_mfma_i32_16x16x32_i8 v[164:167], a[204:205], v[252:253], v[164:167]// 000000007B60: D3D700A4 0E93F9CC
	v_mfma_i32_16x16x32_i8 v[164:167], a[206:207], v[254:255], v[164:167]// 000000007B68: D3D700A4 0E93FDCE
	s_waitcnt vmcnt(36)                                        // 000000007B70: BF8C8F74
	v_mfma_i32_16x16x32_i8 v[168:171], a[208:209], v[224:225], v[168:171]// 000000007B74: D3D700A8 0EA3C1D0
	buffer_load_dwordx4 a[80:83], v39, s[24:27], 0 offen       // 000000007B7C: E05C1000 80865027
	v_mfma_i32_16x16x32_i8 v[168:171], a[210:211], v[226:227], v[168:171]// 000000007B84: D3D700A8 0EA3C5D2
	v_mfma_i32_16x16x32_i8 v[168:171], a[212:213], v[228:229], v[168:171]// 000000007B8C: D3D700A8 0EA3C9D4
	v_mfma_i32_16x16x32_i8 v[168:171], a[214:215], v[230:231], v[168:171]// 000000007B94: D3D700A8 0EA3CDD6
	v_mfma_i32_16x16x32_i8 v[168:171], a[216:217], v[232:233], v[168:171]// 000000007B9C: D3D700A8 0EA3D1D8
	buffer_load_dwordx4 a[84:87], v39, s[24:27], 0 offen offset:1024// 000000007BA4: E05C1400 80865427
	v_mfma_i32_16x16x32_i8 v[168:171], a[218:219], v[234:235], v[168:171]// 000000007BAC: D3D700A8 0EA3D5DA
	v_mfma_i32_16x16x32_i8 v[168:171], a[220:221], v[236:237], v[168:171]// 000000007BB4: D3D700A8 0EA3D9DC
	v_mfma_i32_16x16x32_i8 v[168:171], a[222:223], v[238:239], v[168:171]// 000000007BBC: D3D700A8 0EA3DDDE
	v_mfma_i32_16x16x32_i8 v[172:175], a[208:209], v[240:241], v[172:175]// 000000007BC4: D3D700AC 0EB3E1D0
	buffer_load_dwordx4 a[88:91], v39, s[24:27], 0 offen offset:2048// 000000007BCC: E05C1800 80865827
	v_mfma_i32_16x16x32_i8 v[172:175], a[210:211], v[242:243], v[172:175]// 000000007BD4: D3D700AC 0EB3E5D2
	v_mfma_i32_16x16x32_i8 v[172:175], a[212:213], v[244:245], v[172:175]// 000000007BDC: D3D700AC 0EB3E9D4
	v_mfma_i32_16x16x32_i8 v[172:175], a[214:215], v[246:247], v[172:175]// 000000007BE4: D3D700AC 0EB3EDD6
	v_mfma_i32_16x16x32_i8 v[172:175], a[216:217], v[248:249], v[172:175]// 000000007BEC: D3D700AC 0EB3F1D8
	buffer_load_dwordx4 a[92:95], v39, s[24:27], 0 offen offset:3072// 000000007BF4: E05C1C00 80865C27
	v_mfma_i32_16x16x32_i8 v[172:175], a[218:219], v[250:251], v[172:175]// 000000007BFC: D3D700AC 0EB3F5DA
	v_mfma_i32_16x16x32_i8 v[172:175], a[220:221], v[252:253], v[172:175]// 000000007C04: D3D700AC 0EB3F9DC
	v_mfma_i32_16x16x32_i8 v[172:175], a[222:223], v[254:255], v[172:175]// 000000007C0C: D3D700AC 0EB3FDDE
	s_waitcnt vmcnt(36)                                        // 000000007C14: BF8C8F74
	v_mfma_i32_16x16x32_i8 v[176:179], a[224:225], v[224:225], v[176:179]// 000000007C18: D3D700B0 0EC3C1E0
	buffer_load_dwordx4 a[96:99], v40, s[24:27], 0 offen       // 000000007C20: E05C1000 80866028
	v_mfma_i32_16x16x32_i8 v[176:179], a[226:227], v[226:227], v[176:179]// 000000007C28: D3D700B0 0EC3C5E2
	v_mfma_i32_16x16x32_i8 v[176:179], a[228:229], v[228:229], v[176:179]// 000000007C30: D3D700B0 0EC3C9E4
	v_mfma_i32_16x16x32_i8 v[176:179], a[230:231], v[230:231], v[176:179]// 000000007C38: D3D700B0 0EC3CDE6
	v_mfma_i32_16x16x32_i8 v[176:179], a[232:233], v[232:233], v[176:179]// 000000007C40: D3D700B0 0EC3D1E8
	buffer_load_dwordx4 a[100:103], v40, s[24:27], 0 offen offset:1024// 000000007C48: E05C1400 80866428
	v_mfma_i32_16x16x32_i8 v[176:179], a[234:235], v[234:235], v[176:179]// 000000007C50: D3D700B0 0EC3D5EA
	v_mfma_i32_16x16x32_i8 v[176:179], a[236:237], v[236:237], v[176:179]// 000000007C58: D3D700B0 0EC3D9EC
	v_mfma_i32_16x16x32_i8 v[176:179], a[238:239], v[238:239], v[176:179]// 000000007C60: D3D700B0 0EC3DDEE
	v_mfma_i32_16x16x32_i8 v[180:183], a[224:225], v[240:241], v[180:183]// 000000007C68: D3D700B4 0ED3E1E0
	buffer_load_dwordx4 a[104:107], v40, s[24:27], 0 offen offset:2048// 000000007C70: E05C1800 80866828
	v_mfma_i32_16x16x32_i8 v[180:183], a[226:227], v[242:243], v[180:183]// 000000007C78: D3D700B4 0ED3E5E2
	v_mfma_i32_16x16x32_i8 v[180:183], a[228:229], v[244:245], v[180:183]// 000000007C80: D3D700B4 0ED3E9E4
	v_mfma_i32_16x16x32_i8 v[180:183], a[230:231], v[246:247], v[180:183]// 000000007C88: D3D700B4 0ED3EDE6
	v_mfma_i32_16x16x32_i8 v[180:183], a[232:233], v[248:249], v[180:183]// 000000007C90: D3D700B4 0ED3F1E8
	buffer_load_dwordx4 a[108:111], v40, s[24:27], 0 offen offset:3072// 000000007C98: E05C1C00 80866C28
	v_mfma_i32_16x16x32_i8 v[180:183], a[234:235], v[250:251], v[180:183]// 000000007CA0: D3D700B4 0ED3F5EA
	v_mfma_i32_16x16x32_i8 v[180:183], a[236:237], v[252:253], v[180:183]// 000000007CA8: D3D700B4 0ED3F9EC
	v_mfma_i32_16x16x32_i8 v[180:183], a[238:239], v[254:255], v[180:183]// 000000007CB0: D3D700B4 0ED3FDEE
	s_waitcnt vmcnt(36)                                        // 000000007CB8: BF8C8F74
	v_mfma_i32_16x16x32_i8 v[184:187], a[240:241], v[224:225], v[184:187]// 000000007CBC: D3D700B8 0EE3C1F0
	buffer_load_dwordx4 a[112:115], v41, s[24:27], 0 offen     // 000000007CC4: E05C1000 80867029
	v_mfma_i32_16x16x32_i8 v[184:187], a[242:243], v[226:227], v[184:187]// 000000007CCC: D3D700B8 0EE3C5F2
	v_mfma_i32_16x16x32_i8 v[184:187], a[244:245], v[228:229], v[184:187]// 000000007CD4: D3D700B8 0EE3C9F4
	v_mfma_i32_16x16x32_i8 v[184:187], a[246:247], v[230:231], v[184:187]// 000000007CDC: D3D700B8 0EE3CDF6
	v_mfma_i32_16x16x32_i8 v[184:187], a[248:249], v[232:233], v[184:187]// 000000007CE4: D3D700B8 0EE3D1F8
	buffer_load_dwordx4 a[116:119], v41, s[24:27], 0 offen offset:1024// 000000007CEC: E05C1400 80867429
	v_mfma_i32_16x16x32_i8 v[184:187], a[250:251], v[234:235], v[184:187]// 000000007CF4: D3D700B8 0EE3D5FA
	v_mfma_i32_16x16x32_i8 v[184:187], a[252:253], v[236:237], v[184:187]// 000000007CFC: D3D700B8 0EE3D9FC
	v_mfma_i32_16x16x32_i8 v[184:187], a[254:255], v[238:239], v[184:187]// 000000007D04: D3D700B8 0EE3DDFE
	v_mfma_i32_16x16x32_i8 v[188:191], a[240:241], v[240:241], v[188:191]// 000000007D0C: D3D700BC 0EF3E1F0
	buffer_load_dwordx4 a[120:123], v41, s[24:27], 0 offen offset:2048// 000000007D14: E05C1800 80867829
	v_mfma_i32_16x16x32_i8 v[188:191], a[242:243], v[242:243], v[188:191]// 000000007D1C: D3D700BC 0EF3E5F2
	v_mfma_i32_16x16x32_i8 v[188:191], a[244:245], v[244:245], v[188:191]// 000000007D24: D3D700BC 0EF3E9F4
	v_mfma_i32_16x16x32_i8 v[188:191], a[246:247], v[246:247], v[188:191]// 000000007D2C: D3D700BC 0EF3EDF6
	v_mfma_i32_16x16x32_i8 v[188:191], a[248:249], v[248:249], v[188:191]// 000000007D34: D3D700BC 0EF3F1F8
	buffer_load_dwordx4 a[124:127], v41, s[24:27], 0 offen offset:3072// 000000007D3C: E05C1C00 80867C29
	v_mfma_i32_16x16x32_i8 v[188:191], a[250:251], v[250:251], v[188:191]// 000000007D44: D3D700BC 0EF3F5FA
	v_mfma_i32_16x16x32_i8 v[188:191], a[252:253], v[252:253], v[188:191]// 000000007D4C: D3D700BC 0EF3F9FC
	v_mfma_i32_16x16x32_i8 v[188:191], a[254:255], v[254:255], v[188:191]// 000000007D54: D3D700BC 0EF3FDFE
	s_add_u32 s60, 0x300, s80                                  // 000000007D5C: 803C50FF 00000300
	s_cmp_lt_u32 s60, s81                                      // 000000007D64: BF0A513C
	s_cselect_b32 s57, s57, 0                                  // 000000007D68: 85398039
	s_add_u32 s60, 0x200, s80                                  // 000000007D6C: 803C50FF 00000200
	s_cmp_lt_u32 s60, s81                                      // 000000007D74: BF0A513C
	s_cselect_b32 s58, s58, 0                                  // 000000007D78: 853A803A
	s_add_u32 s20, s57, s20                                    // 000000007D7C: 80141439
	s_addc_u32 s21, 0, s21                                     // 000000007D80: 82151580
	s_add_u32 s24, s58, s24                                    // 000000007D84: 8018183A
	s_addc_u32 s25, 0, s25                                     // 000000007D88: 82191980
	s_addk_i32 s80, 0x100                                      // 000000007D8C: B7500100
	s_cmp_lt_i32 s80, s81                                      // 000000007D90: BF045150
	s_cbranch_scc0 label_13E7                                  // 000000007D94: BF840001
	s_branch label_10DA                                        // 000000007D98: BF82FCF3

0000000000007d9c <label_13E7>:
	s_mov_b32 s36, -1                                          // 000000007D9C: BEA400C1
	s_mov_b32 s37, -1                                          // 000000007DA0: BEA500C1
	s_mov_b64 s[60:61], 0                                      // 000000007DA4: BEBC0180
	s_cmp_lt_u32 s82, s66                                      // 000000007DA8: BF0A4252
	s_cselect_b64 s[20:21], s[36:37], s[60:61]                 // 000000007DAC: 85943C24
	s_cmp_lt_u32 s83, s66                                      // 000000007DB0: BF0A4253
	s_cselect_b64 s[22:23], s[36:37], s[60:61]                 // 000000007DB4: 85963C24
	s_cmp_lt_u32 s84, s66                                      // 000000007DB8: BF0A4254
	s_cselect_b64 s[24:25], s[36:37], s[60:61]                 // 000000007DBC: 85983C24
	s_cmp_lt_u32 s85, s66                                      // 000000007DC0: BF0A4255
	s_cselect_b64 s[26:27], s[36:37], s[60:61]                 // 000000007DC4: 859A3C24
	s_cmp_lt_u32 s86, s66                                      // 000000007DC8: BF0A4256
	s_cselect_b64 s[28:29], s[36:37], s[60:61]                 // 000000007DCC: 859C3C24
	s_cmp_lt_u32 s87, s66                                      // 000000007DD0: BF0A4257
	s_cselect_b64 s[30:31], s[36:37], s[60:61]                 // 000000007DD4: 859E3C24
	s_cmp_lt_u32 s88, s66                                      // 000000007DD8: BF0A4258
	s_cselect_b64 s[32:33], s[36:37], s[60:61]                 // 000000007DDC: 85A03C24
	s_cmp_lt_u32 s89, s66                                      // 000000007DE0: BF0A4259
	s_cselect_b64 s[34:35], s[36:37], s[60:61]                 // 000000007DE4: 85A23C24
	v_cvt_f32_i32_e32 v128, v128                               // 000000007DE8: 7F000B80
	v_cvt_f32_i32_e32 v129, v129                               // 000000007DEC: 7F020B81
	v_cvt_f32_i32_e32 v130, v130                               // 000000007DF0: 7F040B82
	v_cvt_f32_i32_e32 v131, v131                               // 000000007DF4: 7F060B83
	v_mul_f32_e32 v128, v14, v128                              // 000000007DF8: 0B01010E
	v_mul_f32_e32 v129, v14, v129                              // 000000007DFC: 0B03030E
	v_mul_f32_e32 v130, v14, v130                              // 000000007E00: 0B05050E
	v_mul_f32_e32 v131, v14, v131                              // 000000007E04: 0B07070E
	v_mul_f32_dpp v128, v16, v128 row_newbcast:0 row_mask:0xf bank_mask:0xf// 000000007E08: 0B0100FA FF015010
	v_mul_f32_dpp v129, v16, v129 row_newbcast:1 row_mask:0xf bank_mask:0xf// 000000007E10: 0B0302FA FF015110
	v_mul_f32_dpp v130, v16, v130 row_newbcast:2 row_mask:0xf bank_mask:0xf// 000000007E18: 0B0504FA FF015210
	v_mul_f32_dpp v131, v16, v131 row_newbcast:3 row_mask:0xf bank_mask:0xf// 000000007E20: 0B0706FA FF015310
	v_cvt_f32_i32_e32 v132, v132                               // 000000007E28: 7F080B84
	v_cvt_f32_i32_e32 v133, v133                               // 000000007E2C: 7F0A0B85
	v_cvt_f32_i32_e32 v134, v134                               // 000000007E30: 7F0C0B86
	v_cvt_f32_i32_e32 v135, v135                               // 000000007E34: 7F0E0B87
	v_mul_f32_e32 v132, v15, v132                              // 000000007E38: 0B09090F
	v_mul_f32_e32 v133, v15, v133                              // 000000007E3C: 0B0B0B0F
	v_mul_f32_e32 v134, v15, v134                              // 000000007E40: 0B0D0D0F
	v_mul_f32_e32 v135, v15, v135                              // 000000007E44: 0B0F0F0F
	v_mul_f32_dpp v132, v16, v132 row_newbcast:0 row_mask:0xf bank_mask:0xf// 000000007E48: 0B0908FA FF015010
	v_mul_f32_dpp v133, v16, v133 row_newbcast:1 row_mask:0xf bank_mask:0xf// 000000007E50: 0B0B0AFA FF015110
	v_mul_f32_dpp v134, v16, v134 row_newbcast:2 row_mask:0xf bank_mask:0xf// 000000007E58: 0B0D0CFA FF015210
	v_mul_f32_dpp v135, v16, v135 row_newbcast:3 row_mask:0xf bank_mask:0xf// 000000007E60: 0B0F0EFA FF015310
	v_cvt_f32_i32_e32 v136, v136                               // 000000007E68: 7F100B88
	v_cvt_f32_i32_e32 v137, v137                               // 000000007E6C: 7F120B89
	v_cvt_f32_i32_e32 v138, v138                               // 000000007E70: 7F140B8A
	v_cvt_f32_i32_e32 v139, v139                               // 000000007E74: 7F160B8B
	v_mul_f32_e32 v136, v14, v136                              // 000000007E78: 0B11110E
	v_mul_f32_e32 v137, v14, v137                              // 000000007E7C: 0B13130E
	v_mul_f32_e32 v138, v14, v138                              // 000000007E80: 0B15150E
	v_mul_f32_e32 v139, v14, v139                              // 000000007E84: 0B17170E
	v_mul_f32_dpp v136, v16, v136 row_newbcast:4 row_mask:0xf bank_mask:0xf// 000000007E88: 0B1110FA FF015410
	v_mul_f32_dpp v137, v16, v137 row_newbcast:5 row_mask:0xf bank_mask:0xf// 000000007E90: 0B1312FA FF015510
	v_mul_f32_dpp v138, v16, v138 row_newbcast:6 row_mask:0xf bank_mask:0xf// 000000007E98: 0B1514FA FF015610
	v_mul_f32_dpp v139, v16, v139 row_newbcast:7 row_mask:0xf bank_mask:0xf// 000000007EA0: 0B1716FA FF015710
	v_cvt_f32_i32_e32 v140, v140                               // 000000007EA8: 7F180B8C
	v_cvt_f32_i32_e32 v141, v141                               // 000000007EAC: 7F1A0B8D
	v_cvt_f32_i32_e32 v142, v142                               // 000000007EB0: 7F1C0B8E
	v_cvt_f32_i32_e32 v143, v143                               // 000000007EB4: 7F1E0B8F
	v_mul_f32_e32 v140, v15, v140                              // 000000007EB8: 0B19190F
	v_mul_f32_e32 v141, v15, v141                              // 000000007EBC: 0B1B1B0F
	v_mul_f32_e32 v142, v15, v142                              // 000000007EC0: 0B1D1D0F
	v_mul_f32_e32 v143, v15, v143                              // 000000007EC4: 0B1F1F0F
	v_mul_f32_dpp v140, v16, v140 row_newbcast:4 row_mask:0xf bank_mask:0xf// 000000007EC8: 0B1918FA FF015410
	v_mul_f32_dpp v141, v16, v141 row_newbcast:5 row_mask:0xf bank_mask:0xf// 000000007ED0: 0B1B1AFA FF015510
	v_mul_f32_dpp v142, v16, v142 row_newbcast:6 row_mask:0xf bank_mask:0xf// 000000007ED8: 0B1D1CFA FF015610
	v_mul_f32_dpp v143, v16, v143 row_newbcast:7 row_mask:0xf bank_mask:0xf// 000000007EE0: 0B1F1EFA FF015710
	v_cvt_f32_i32_e32 v144, v144                               // 000000007EE8: 7F200B90
	v_cvt_f32_i32_e32 v145, v145                               // 000000007EEC: 7F220B91
	v_cvt_f32_i32_e32 v146, v146                               // 000000007EF0: 7F240B92
	v_cvt_f32_i32_e32 v147, v147                               // 000000007EF4: 7F260B93
	v_mul_f32_e32 v144, v14, v144                              // 000000007EF8: 0B21210E
	v_mul_f32_e32 v145, v14, v145                              // 000000007EFC: 0B23230E
	v_mul_f32_e32 v146, v14, v146                              // 000000007F00: 0B25250E
	v_mul_f32_e32 v147, v14, v147                              // 000000007F04: 0B27270E
	v_mul_f32_dpp v144, v16, v144 row_newbcast:8 row_mask:0xf bank_mask:0xf// 000000007F08: 0B2120FA FF015810
	v_mul_f32_dpp v145, v16, v145 row_newbcast:9 row_mask:0xf bank_mask:0xf// 000000007F10: 0B2322FA FF015910
	v_mul_f32_dpp v146, v16, v146 row_newbcast:10 row_mask:0xf bank_mask:0xf// 000000007F18: 0B2524FA FF015A10
	v_mul_f32_dpp v147, v16, v147 row_newbcast:11 row_mask:0xf bank_mask:0xf// 000000007F20: 0B2726FA FF015B10
	v_cvt_f32_i32_e32 v148, v148                               // 000000007F28: 7F280B94
	v_cvt_f32_i32_e32 v149, v149                               // 000000007F2C: 7F2A0B95
	v_cvt_f32_i32_e32 v150, v150                               // 000000007F30: 7F2C0B96
	v_cvt_f32_i32_e32 v151, v151                               // 000000007F34: 7F2E0B97
	v_mul_f32_e32 v148, v15, v148                              // 000000007F38: 0B29290F
	v_mul_f32_e32 v149, v15, v149                              // 000000007F3C: 0B2B2B0F
	v_mul_f32_e32 v150, v15, v150                              // 000000007F40: 0B2D2D0F
	v_mul_f32_e32 v151, v15, v151                              // 000000007F44: 0B2F2F0F
	v_mul_f32_dpp v148, v16, v148 row_newbcast:8 row_mask:0xf bank_mask:0xf// 000000007F48: 0B2928FA FF015810
	v_mul_f32_dpp v149, v16, v149 row_newbcast:9 row_mask:0xf bank_mask:0xf// 000000007F50: 0B2B2AFA FF015910
	v_mul_f32_dpp v150, v16, v150 row_newbcast:10 row_mask:0xf bank_mask:0xf// 000000007F58: 0B2D2CFA FF015A10
	v_mul_f32_dpp v151, v16, v151 row_newbcast:11 row_mask:0xf bank_mask:0xf// 000000007F60: 0B2F2EFA FF015B10
	v_cvt_f32_i32_e32 v152, v152                               // 000000007F68: 7F300B98
	v_cvt_f32_i32_e32 v153, v153                               // 000000007F6C: 7F320B99
	v_cvt_f32_i32_e32 v154, v154                               // 000000007F70: 7F340B9A
	v_cvt_f32_i32_e32 v155, v155                               // 000000007F74: 7F360B9B
	v_mul_f32_e32 v152, v14, v152                              // 000000007F78: 0B31310E
	v_mul_f32_e32 v153, v14, v153                              // 000000007F7C: 0B33330E
	v_mul_f32_e32 v154, v14, v154                              // 000000007F80: 0B35350E
	v_mul_f32_e32 v155, v14, v155                              // 000000007F84: 0B37370E
	v_mul_f32_dpp v152, v16, v152 row_newbcast:12 row_mask:0xf bank_mask:0xf// 000000007F88: 0B3130FA FF015C10
	v_mul_f32_dpp v153, v16, v153 row_newbcast:13 row_mask:0xf bank_mask:0xf// 000000007F90: 0B3332FA FF015D10
	v_mul_f32_dpp v154, v16, v154 row_newbcast:14 row_mask:0xf bank_mask:0xf// 000000007F98: 0B3534FA FF015E10
	v_mul_f32_dpp v155, v16, v155 row_newbcast:15 row_mask:0xf bank_mask:0xf// 000000007FA0: 0B3736FA FF015F10
	v_cvt_f32_i32_e32 v156, v156                               // 000000007FA8: 7F380B9C
	v_cvt_f32_i32_e32 v157, v157                               // 000000007FAC: 7F3A0B9D
	v_cvt_f32_i32_e32 v158, v158                               // 000000007FB0: 7F3C0B9E
	v_cvt_f32_i32_e32 v159, v159                               // 000000007FB4: 7F3E0B9F
	v_mul_f32_e32 v156, v15, v156                              // 000000007FB8: 0B39390F
	v_mul_f32_e32 v157, v15, v157                              // 000000007FBC: 0B3B3B0F
	v_mul_f32_e32 v158, v15, v158                              // 000000007FC0: 0B3D3D0F
	v_mul_f32_e32 v159, v15, v159                              // 000000007FC4: 0B3F3F0F
	v_mul_f32_dpp v156, v16, v156 row_newbcast:12 row_mask:0xf bank_mask:0xf// 000000007FC8: 0B3938FA FF015C10
	v_mul_f32_dpp v157, v16, v157 row_newbcast:13 row_mask:0xf bank_mask:0xf// 000000007FD0: 0B3B3AFA FF015D10
	v_mul_f32_dpp v158, v16, v158 row_newbcast:14 row_mask:0xf bank_mask:0xf// 000000007FD8: 0B3D3CFA FF015E10
	v_mul_f32_dpp v159, v16, v159 row_newbcast:15 row_mask:0xf bank_mask:0xf// 000000007FE0: 0B3F3EFA FF015F10
	v_cvt_f32_i32_e32 v160, v160                               // 000000007FE8: 7F400BA0
	v_cvt_f32_i32_e32 v161, v161                               // 000000007FEC: 7F420BA1
	v_cvt_f32_i32_e32 v162, v162                               // 000000007FF0: 7F440BA2
	v_cvt_f32_i32_e32 v163, v163                               // 000000007FF4: 7F460BA3
	v_mul_f32_e32 v160, v14, v160                              // 000000007FF8: 0B41410E
	v_mul_f32_e32 v161, v14, v161                              // 000000007FFC: 0B43430E
	v_mul_f32_e32 v162, v14, v162                              // 000000008000: 0B45450E
	v_mul_f32_e32 v163, v14, v163                              // 000000008004: 0B47470E
	v_mul_f32_dpp v160, v17, v160 row_newbcast:0 row_mask:0xf bank_mask:0xf// 000000008008: 0B4140FA FF015011
	v_mul_f32_dpp v161, v17, v161 row_newbcast:1 row_mask:0xf bank_mask:0xf// 000000008010: 0B4342FA FF015111
	v_mul_f32_dpp v162, v17, v162 row_newbcast:2 row_mask:0xf bank_mask:0xf// 000000008018: 0B4544FA FF015211
	v_mul_f32_dpp v163, v17, v163 row_newbcast:3 row_mask:0xf bank_mask:0xf// 000000008020: 0B4746FA FF015311
	v_cvt_f32_i32_e32 v164, v164                               // 000000008028: 7F480BA4
	v_cvt_f32_i32_e32 v165, v165                               // 00000000802C: 7F4A0BA5
	v_cvt_f32_i32_e32 v166, v166                               // 000000008030: 7F4C0BA6
	v_cvt_f32_i32_e32 v167, v167                               // 000000008034: 7F4E0BA7
	v_mul_f32_e32 v164, v15, v164                              // 000000008038: 0B49490F
	v_mul_f32_e32 v165, v15, v165                              // 00000000803C: 0B4B4B0F
	v_mul_f32_e32 v166, v15, v166                              // 000000008040: 0B4D4D0F
	v_mul_f32_e32 v167, v15, v167                              // 000000008044: 0B4F4F0F
	v_mul_f32_dpp v164, v17, v164 row_newbcast:0 row_mask:0xf bank_mask:0xf// 000000008048: 0B4948FA FF015011
	v_mul_f32_dpp v165, v17, v165 row_newbcast:1 row_mask:0xf bank_mask:0xf// 000000008050: 0B4B4AFA FF015111
	v_mul_f32_dpp v166, v17, v166 row_newbcast:2 row_mask:0xf bank_mask:0xf// 000000008058: 0B4D4CFA FF015211
	v_mul_f32_dpp v167, v17, v167 row_newbcast:3 row_mask:0xf bank_mask:0xf// 000000008060: 0B4F4EFA FF015311
	v_cvt_f32_i32_e32 v168, v168                               // 000000008068: 7F500BA8
	v_cvt_f32_i32_e32 v169, v169                               // 00000000806C: 7F520BA9
	v_cvt_f32_i32_e32 v170, v170                               // 000000008070: 7F540BAA
	v_cvt_f32_i32_e32 v171, v171                               // 000000008074: 7F560BAB
	v_mul_f32_e32 v168, v14, v168                              // 000000008078: 0B51510E
	v_mul_f32_e32 v169, v14, v169                              // 00000000807C: 0B53530E
	v_mul_f32_e32 v170, v14, v170                              // 000000008080: 0B55550E
	v_mul_f32_e32 v171, v14, v171                              // 000000008084: 0B57570E
	v_mul_f32_dpp v168, v17, v168 row_newbcast:4 row_mask:0xf bank_mask:0xf// 000000008088: 0B5150FA FF015411
	v_mul_f32_dpp v169, v17, v169 row_newbcast:5 row_mask:0xf bank_mask:0xf// 000000008090: 0B5352FA FF015511
	v_mul_f32_dpp v170, v17, v170 row_newbcast:6 row_mask:0xf bank_mask:0xf// 000000008098: 0B5554FA FF015611
	v_mul_f32_dpp v171, v17, v171 row_newbcast:7 row_mask:0xf bank_mask:0xf// 0000000080A0: 0B5756FA FF015711
	v_cvt_f32_i32_e32 v172, v172                               // 0000000080A8: 7F580BAC
	v_cvt_f32_i32_e32 v173, v173                               // 0000000080AC: 7F5A0BAD
	v_cvt_f32_i32_e32 v174, v174                               // 0000000080B0: 7F5C0BAE
	v_cvt_f32_i32_e32 v175, v175                               // 0000000080B4: 7F5E0BAF
	v_mul_f32_e32 v172, v15, v172                              // 0000000080B8: 0B59590F
	v_mul_f32_e32 v173, v15, v173                              // 0000000080BC: 0B5B5B0F
	v_mul_f32_e32 v174, v15, v174                              // 0000000080C0: 0B5D5D0F
	v_mul_f32_e32 v175, v15, v175                              // 0000000080C4: 0B5F5F0F
	v_mul_f32_dpp v172, v17, v172 row_newbcast:4 row_mask:0xf bank_mask:0xf// 0000000080C8: 0B5958FA FF015411
	v_mul_f32_dpp v173, v17, v173 row_newbcast:5 row_mask:0xf bank_mask:0xf// 0000000080D0: 0B5B5AFA FF015511
	v_mul_f32_dpp v174, v17, v174 row_newbcast:6 row_mask:0xf bank_mask:0xf// 0000000080D8: 0B5D5CFA FF015611
	v_mul_f32_dpp v175, v17, v175 row_newbcast:7 row_mask:0xf bank_mask:0xf// 0000000080E0: 0B5F5EFA FF015711
	v_cvt_f32_i32_e32 v176, v176                               // 0000000080E8: 7F600BB0
	v_cvt_f32_i32_e32 v177, v177                               // 0000000080EC: 7F620BB1
	v_cvt_f32_i32_e32 v178, v178                               // 0000000080F0: 7F640BB2
	v_cvt_f32_i32_e32 v179, v179                               // 0000000080F4: 7F660BB3
	v_mul_f32_e32 v176, v14, v176                              // 0000000080F8: 0B61610E
	v_mul_f32_e32 v177, v14, v177                              // 0000000080FC: 0B63630E
	v_mul_f32_e32 v178, v14, v178                              // 000000008100: 0B65650E
	v_mul_f32_e32 v179, v14, v179                              // 000000008104: 0B67670E
	v_mul_f32_dpp v176, v17, v176 row_newbcast:8 row_mask:0xf bank_mask:0xf// 000000008108: 0B6160FA FF015811
	v_mul_f32_dpp v177, v17, v177 row_newbcast:9 row_mask:0xf bank_mask:0xf// 000000008110: 0B6362FA FF015911
	v_mul_f32_dpp v178, v17, v178 row_newbcast:10 row_mask:0xf bank_mask:0xf// 000000008118: 0B6564FA FF015A11
	v_mul_f32_dpp v179, v17, v179 row_newbcast:11 row_mask:0xf bank_mask:0xf// 000000008120: 0B6766FA FF015B11
	v_cvt_f32_i32_e32 v180, v180                               // 000000008128: 7F680BB4
	v_cvt_f32_i32_e32 v181, v181                               // 00000000812C: 7F6A0BB5
	v_cvt_f32_i32_e32 v182, v182                               // 000000008130: 7F6C0BB6
	v_cvt_f32_i32_e32 v183, v183                               // 000000008134: 7F6E0BB7
	v_mul_f32_e32 v180, v15, v180                              // 000000008138: 0B69690F
	v_mul_f32_e32 v181, v15, v181                              // 00000000813C: 0B6B6B0F
	v_mul_f32_e32 v182, v15, v182                              // 000000008140: 0B6D6D0F
	v_mul_f32_e32 v183, v15, v183                              // 000000008144: 0B6F6F0F
	v_mul_f32_dpp v180, v17, v180 row_newbcast:8 row_mask:0xf bank_mask:0xf// 000000008148: 0B6968FA FF015811
	v_mul_f32_dpp v181, v17, v181 row_newbcast:9 row_mask:0xf bank_mask:0xf// 000000008150: 0B6B6AFA FF015911
	v_mul_f32_dpp v182, v17, v182 row_newbcast:10 row_mask:0xf bank_mask:0xf// 000000008158: 0B6D6CFA FF015A11
	v_mul_f32_dpp v183, v17, v183 row_newbcast:11 row_mask:0xf bank_mask:0xf// 000000008160: 0B6F6EFA FF015B11
	v_cvt_f32_i32_e32 v184, v184                               // 000000008168: 7F700BB8
	v_cvt_f32_i32_e32 v185, v185                               // 00000000816C: 7F720BB9
	v_cvt_f32_i32_e32 v186, v186                               // 000000008170: 7F740BBA
	v_cvt_f32_i32_e32 v187, v187                               // 000000008174: 7F760BBB
	v_mul_f32_e32 v184, v14, v184                              // 000000008178: 0B71710E
	v_mul_f32_e32 v185, v14, v185                              // 00000000817C: 0B73730E
	v_mul_f32_e32 v186, v14, v186                              // 000000008180: 0B75750E
	v_mul_f32_e32 v187, v14, v187                              // 000000008184: 0B77770E
	v_mul_f32_dpp v184, v17, v184 row_newbcast:12 row_mask:0xf bank_mask:0xf// 000000008188: 0B7170FA FF015C11
	v_mul_f32_dpp v185, v17, v185 row_newbcast:13 row_mask:0xf bank_mask:0xf// 000000008190: 0B7372FA FF015D11
	v_mul_f32_dpp v186, v17, v186 row_newbcast:14 row_mask:0xf bank_mask:0xf// 000000008198: 0B7574FA FF015E11
	v_mul_f32_dpp v187, v17, v187 row_newbcast:15 row_mask:0xf bank_mask:0xf// 0000000081A0: 0B7776FA FF015F11
	v_cvt_f32_i32_e32 v188, v188                               // 0000000081A8: 7F780BBC
	v_cvt_f32_i32_e32 v189, v189                               // 0000000081AC: 7F7A0BBD
	v_cvt_f32_i32_e32 v190, v190                               // 0000000081B0: 7F7C0BBE
	v_cvt_f32_i32_e32 v191, v191                               // 0000000081B4: 7F7E0BBF
	v_mul_f32_e32 v188, v15, v188                              // 0000000081B8: 0B79790F
	v_mul_f32_e32 v189, v15, v189                              // 0000000081BC: 0B7B7B0F
	v_mul_f32_e32 v190, v15, v190                              // 0000000081C0: 0B7D7D0F
	v_mul_f32_e32 v191, v15, v191                              // 0000000081C4: 0B7F7F0F
	v_mul_f32_dpp v188, v17, v188 row_newbcast:12 row_mask:0xf bank_mask:0xf// 0000000081C8: 0B7978FA FF015C11
	v_mul_f32_dpp v189, v17, v189 row_newbcast:13 row_mask:0xf bank_mask:0xf// 0000000081D0: 0B7B7AFA FF015D11
	v_mul_f32_dpp v190, v17, v190 row_newbcast:14 row_mask:0xf bank_mask:0xf// 0000000081D8: 0B7D7CFA FF015E11
	v_mul_f32_dpp v191, v17, v191 row_newbcast:15 row_mask:0xf bank_mask:0xf// 0000000081E0: 0B7F7EFA FF015F11
	s_waitcnt vmcnt(28)                                        // 0000000081E8: BF8C4F7C
	buffer_load_dwordx4 a[0:3], v42, s[12:15], 0 offen         // 0000000081EC: E05C1000 8083002A
	v_mul_f32_e64 v50, -v128, s6                               // 0000000081F4: D1050032 20000D80
	v_mul_f32_e64 v51, -v129, s6                               // 0000000081FC: D1050033 20000D81
	v_mul_f32_e64 v52, -v130, s6                               // 000000008204: D1050034 20000D82
	v_mul_f32_e64 v53, -v131, s6                               // 00000000820C: D1050035 20000D83
	v_exp_f32_e32 v50, v50                                     // 000000008214: 7E644132
	v_exp_f32_e32 v51, v51                                     // 000000008218: 7E664133
	v_exp_f32_e32 v52, v52                                     // 00000000821C: 7E684134
	v_exp_f32_e32 v53, v53                                     // 000000008220: 7E6A4135
	buffer_load_dwordx4 a[4:7], v43, s[12:15], 0 offen         // 000000008224: E05C1000 8083042B
	v_add_f32_e64 v50, v50, 1.0                                // 00000000822C: D1010032 0001E532
	v_add_f32_e64 v51, v51, 1.0                                // 000000008234: D1010033 0001E533
	v_add_f32_e64 v52, v52, 1.0                                // 00000000823C: D1010034 0001E534
	v_add_f32_e64 v53, v53, 1.0                                // 000000008244: D1010035 0001E535
	v_rcp_f32_e32 v50, v50                                     // 00000000824C: 7E644532
	v_rcp_f32_e32 v51, v51                                     // 000000008250: 7E664533
	v_rcp_f32_e32 v52, v52                                     // 000000008254: 7E684534
	v_rcp_f32_e32 v53, v53                                     // 000000008258: 7E6A4535
	v_mul_f32_e32 v128, v128, v50                              // 00000000825C: 0B006580
	v_mul_f32_e32 v129, v129, v51                              // 000000008260: 0B026781
	v_mul_f32_e32 v130, v130, v52                              // 000000008264: 0B046982
	v_mul_f32_e32 v131, v131, v53                              // 000000008268: 0B066B83
	buffer_load_dwordx4 a[8:11], v44, s[12:15], 0 offen        // 00000000826C: E05C1000 8083082C
	v_mul_f32_e64 v50, -v132, s6                               // 000000008274: D1050032 20000D84
	v_mul_f32_e64 v51, -v133, s6                               // 00000000827C: D1050033 20000D85
	v_mul_f32_e64 v52, -v134, s6                               // 000000008284: D1050034 20000D86
	v_mul_f32_e64 v53, -v135, s6                               // 00000000828C: D1050035 20000D87
	v_exp_f32_e32 v50, v50                                     // 000000008294: 7E644132
	v_exp_f32_e32 v51, v51                                     // 000000008298: 7E664133
	v_exp_f32_e32 v52, v52                                     // 00000000829C: 7E684134
	v_exp_f32_e32 v53, v53                                     // 0000000082A0: 7E6A4135
	buffer_load_dwordx4 a[12:15], v45, s[12:15], 0 offen       // 0000000082A4: E05C1000 80830C2D
	s_add_u32 s12, s78, s12                                    // 0000000082AC: 800C0C4E
	s_addc_u32 s13, 0, s13                                     // 0000000082B0: 820D0D80
	v_add_f32_e64 v50, v50, 1.0                                // 0000000082B4: D1010032 0001E532
	v_add_f32_e64 v51, v51, 1.0                                // 0000000082BC: D1010033 0001E533
	v_add_f32_e64 v52, v52, 1.0                                // 0000000082C4: D1010034 0001E534
	v_add_f32_e64 v53, v53, 1.0                                // 0000000082CC: D1010035 0001E535
	v_rcp_f32_e32 v50, v50                                     // 0000000082D4: 7E644532
	v_rcp_f32_e32 v51, v51                                     // 0000000082D8: 7E664533
	v_rcp_f32_e32 v52, v52                                     // 0000000082DC: 7E684534
	v_rcp_f32_e32 v53, v53                                     // 0000000082E0: 7E6A4535
	v_mul_f32_e32 v132, v132, v50                              // 0000000082E4: 0B086584
	v_mul_f32_e32 v133, v133, v51                              // 0000000082E8: 0B0A6785
	v_mul_f32_e32 v134, v134, v52                              // 0000000082EC: 0B0C6986
	v_mul_f32_e32 v135, v135, v53                              // 0000000082F0: 0B0E6B87
	s_waitcnt vmcnt(28)                                        // 0000000082F4: BF8C4F7C
	buffer_load_dwordx4 a[16:19], v42, s[12:15], 0 offen       // 0000000082F8: E05C1000 8083102A
	v_mul_f32_e64 v50, -v136, s6                               // 000000008300: D1050032 20000D88
	v_mul_f32_e64 v51, -v137, s6                               // 000000008308: D1050033 20000D89
	v_mul_f32_e64 v52, -v138, s6                               // 000000008310: D1050034 20000D8A
	v_mul_f32_e64 v53, -v139, s6                               // 000000008318: D1050035 20000D8B
	v_exp_f32_e32 v50, v50                                     // 000000008320: 7E644132
	v_exp_f32_e32 v51, v51                                     // 000000008324: 7E664133
	v_exp_f32_e32 v52, v52                                     // 000000008328: 7E684134
	v_exp_f32_e32 v53, v53                                     // 00000000832C: 7E6A4135
	buffer_load_dwordx4 a[20:23], v43, s[12:15], 0 offen       // 000000008330: E05C1000 8083142B
	v_add_f32_e64 v50, v50, 1.0                                // 000000008338: D1010032 0001E532
	v_add_f32_e64 v51, v51, 1.0                                // 000000008340: D1010033 0001E533
	v_add_f32_e64 v52, v52, 1.0                                // 000000008348: D1010034 0001E534
	v_add_f32_e64 v53, v53, 1.0                                // 000000008350: D1010035 0001E535
	v_rcp_f32_e32 v50, v50                                     // 000000008358: 7E644532
	v_rcp_f32_e32 v51, v51                                     // 00000000835C: 7E664533
	v_rcp_f32_e32 v52, v52                                     // 000000008360: 7E684534
	v_rcp_f32_e32 v53, v53                                     // 000000008364: 7E6A4535
	v_mul_f32_e32 v136, v136, v50                              // 000000008368: 0B106588
	v_mul_f32_e32 v137, v137, v51                              // 00000000836C: 0B126789
	v_mul_f32_e32 v138, v138, v52                              // 000000008370: 0B14698A
	v_mul_f32_e32 v139, v139, v53                              // 000000008374: 0B166B8B
	buffer_load_dwordx4 a[24:27], v44, s[12:15], 0 offen       // 000000008378: E05C1000 8083182C
	v_mul_f32_e64 v50, -v140, s6                               // 000000008380: D1050032 20000D8C
	v_mul_f32_e64 v51, -v141, s6                               // 000000008388: D1050033 20000D8D
	v_mul_f32_e64 v52, -v142, s6                               // 000000008390: D1050034 20000D8E
	v_mul_f32_e64 v53, -v143, s6                               // 000000008398: D1050035 20000D8F
	v_exp_f32_e32 v50, v50                                     // 0000000083A0: 7E644132
	v_exp_f32_e32 v51, v51                                     // 0000000083A4: 7E664133
	v_exp_f32_e32 v52, v52                                     // 0000000083A8: 7E684134
	v_exp_f32_e32 v53, v53                                     // 0000000083AC: 7E6A4135
	buffer_load_dwordx4 a[28:31], v45, s[12:15], 0 offen       // 0000000083B0: E05C1000 80831C2D
	s_add_u32 s12, s78, s12                                    // 0000000083B8: 800C0C4E
	s_addc_u32 s13, 0, s13                                     // 0000000083BC: 820D0D80
	v_add_f32_e64 v50, v50, 1.0                                // 0000000083C0: D1010032 0001E532
	v_add_f32_e64 v51, v51, 1.0                                // 0000000083C8: D1010033 0001E533
	v_add_f32_e64 v52, v52, 1.0                                // 0000000083D0: D1010034 0001E534
	v_add_f32_e64 v53, v53, 1.0                                // 0000000083D8: D1010035 0001E535
	v_rcp_f32_e32 v50, v50                                     // 0000000083E0: 7E644532
	v_rcp_f32_e32 v51, v51                                     // 0000000083E4: 7E664533
	v_rcp_f32_e32 v52, v52                                     // 0000000083E8: 7E684534
	v_rcp_f32_e32 v53, v53                                     // 0000000083EC: 7E6A4535
	v_mul_f32_e32 v140, v140, v50                              // 0000000083F0: 0B18658C
	v_mul_f32_e32 v141, v141, v51                              // 0000000083F4: 0B1A678D
	v_mul_f32_e32 v142, v142, v52                              // 0000000083F8: 0B1C698E
	v_mul_f32_e32 v143, v143, v53                              // 0000000083FC: 0B1E6B8F
	s_waitcnt vmcnt(28)                                        // 000000008400: BF8C4F7C
	buffer_load_dwordx4 a[32:35], v42, s[12:15], 0 offen       // 000000008404: E05C1000 8083202A
	v_mul_f32_e64 v50, -v144, s6                               // 00000000840C: D1050032 20000D90
	v_mul_f32_e64 v51, -v145, s6                               // 000000008414: D1050033 20000D91
	v_mul_f32_e64 v52, -v146, s6                               // 00000000841C: D1050034 20000D92
	v_mul_f32_e64 v53, -v147, s6                               // 000000008424: D1050035 20000D93
	v_exp_f32_e32 v50, v50                                     // 00000000842C: 7E644132
	v_exp_f32_e32 v51, v51                                     // 000000008430: 7E664133
	v_exp_f32_e32 v52, v52                                     // 000000008434: 7E684134
	v_exp_f32_e32 v53, v53                                     // 000000008438: 7E6A4135
	buffer_load_dwordx4 a[36:39], v43, s[12:15], 0 offen       // 00000000843C: E05C1000 8083242B
	v_add_f32_e64 v50, v50, 1.0                                // 000000008444: D1010032 0001E532
	v_add_f32_e64 v51, v51, 1.0                                // 00000000844C: D1010033 0001E533
	v_add_f32_e64 v52, v52, 1.0                                // 000000008454: D1010034 0001E534
	v_add_f32_e64 v53, v53, 1.0                                // 00000000845C: D1010035 0001E535
	v_rcp_f32_e32 v50, v50                                     // 000000008464: 7E644532
	v_rcp_f32_e32 v51, v51                                     // 000000008468: 7E664533
	v_rcp_f32_e32 v52, v52                                     // 00000000846C: 7E684534
	v_rcp_f32_e32 v53, v53                                     // 000000008470: 7E6A4535
	v_mul_f32_e32 v144, v144, v50                              // 000000008474: 0B206590
	v_mul_f32_e32 v145, v145, v51                              // 000000008478: 0B226791
	v_mul_f32_e32 v146, v146, v52                              // 00000000847C: 0B246992
	v_mul_f32_e32 v147, v147, v53                              // 000000008480: 0B266B93
	buffer_load_dwordx4 a[40:43], v44, s[12:15], 0 offen       // 000000008484: E05C1000 8083282C
	v_mul_f32_e64 v50, -v148, s6                               // 00000000848C: D1050032 20000D94
	v_mul_f32_e64 v51, -v149, s6                               // 000000008494: D1050033 20000D95
	v_mul_f32_e64 v52, -v150, s6                               // 00000000849C: D1050034 20000D96
	v_mul_f32_e64 v53, -v151, s6                               // 0000000084A4: D1050035 20000D97
	v_exp_f32_e32 v50, v50                                     // 0000000084AC: 7E644132
	v_exp_f32_e32 v51, v51                                     // 0000000084B0: 7E664133
	v_exp_f32_e32 v52, v52                                     // 0000000084B4: 7E684134
	v_exp_f32_e32 v53, v53                                     // 0000000084B8: 7E6A4135
	buffer_load_dwordx4 a[44:47], v45, s[12:15], 0 offen       // 0000000084BC: E05C1000 80832C2D
	s_add_u32 s12, s78, s12                                    // 0000000084C4: 800C0C4E
	s_addc_u32 s13, 0, s13                                     // 0000000084C8: 820D0D80
	v_add_f32_e64 v50, v50, 1.0                                // 0000000084CC: D1010032 0001E532
	v_add_f32_e64 v51, v51, 1.0                                // 0000000084D4: D1010033 0001E533
	v_add_f32_e64 v52, v52, 1.0                                // 0000000084DC: D1010034 0001E534
	v_add_f32_e64 v53, v53, 1.0                                // 0000000084E4: D1010035 0001E535
	v_rcp_f32_e32 v50, v50                                     // 0000000084EC: 7E644532
	v_rcp_f32_e32 v51, v51                                     // 0000000084F0: 7E664533
	v_rcp_f32_e32 v52, v52                                     // 0000000084F4: 7E684534
	v_rcp_f32_e32 v53, v53                                     // 0000000084F8: 7E6A4535
	v_mul_f32_e32 v148, v148, v50                              // 0000000084FC: 0B286594
	v_mul_f32_e32 v149, v149, v51                              // 000000008500: 0B2A6795
	v_mul_f32_e32 v150, v150, v52                              // 000000008504: 0B2C6996
	v_mul_f32_e32 v151, v151, v53                              // 000000008508: 0B2E6B97
	s_waitcnt vmcnt(28)                                        // 00000000850C: BF8C4F7C
	buffer_load_dwordx4 a[48:51], v42, s[12:15], 0 offen       // 000000008510: E05C1000 8083302A
	v_mul_f32_e64 v50, -v152, s6                               // 000000008518: D1050032 20000D98
	v_mul_f32_e64 v51, -v153, s6                               // 000000008520: D1050033 20000D99
	v_mul_f32_e64 v52, -v154, s6                               // 000000008528: D1050034 20000D9A
	v_mul_f32_e64 v53, -v155, s6                               // 000000008530: D1050035 20000D9B
	v_exp_f32_e32 v50, v50                                     // 000000008538: 7E644132
	v_exp_f32_e32 v51, v51                                     // 00000000853C: 7E664133
	v_exp_f32_e32 v52, v52                                     // 000000008540: 7E684134
	v_exp_f32_e32 v53, v53                                     // 000000008544: 7E6A4135
	buffer_load_dwordx4 a[52:55], v43, s[12:15], 0 offen       // 000000008548: E05C1000 8083342B
	v_add_f32_e64 v50, v50, 1.0                                // 000000008550: D1010032 0001E532
	v_add_f32_e64 v51, v51, 1.0                                // 000000008558: D1010033 0001E533
	v_add_f32_e64 v52, v52, 1.0                                // 000000008560: D1010034 0001E534
	v_add_f32_e64 v53, v53, 1.0                                // 000000008568: D1010035 0001E535
	v_rcp_f32_e32 v50, v50                                     // 000000008570: 7E644532
	v_rcp_f32_e32 v51, v51                                     // 000000008574: 7E664533
	v_rcp_f32_e32 v52, v52                                     // 000000008578: 7E684534
	v_rcp_f32_e32 v53, v53                                     // 00000000857C: 7E6A4535
	v_mul_f32_e32 v152, v152, v50                              // 000000008580: 0B306598
	v_mul_f32_e32 v153, v153, v51                              // 000000008584: 0B326799
	v_mul_f32_e32 v154, v154, v52                              // 000000008588: 0B34699A
	v_mul_f32_e32 v155, v155, v53                              // 00000000858C: 0B366B9B
	buffer_load_dwordx4 a[56:59], v44, s[12:15], 0 offen       // 000000008590: E05C1000 8083382C
	v_mul_f32_e64 v50, -v156, s6                               // 000000008598: D1050032 20000D9C
	v_mul_f32_e64 v51, -v157, s6                               // 0000000085A0: D1050033 20000D9D
	v_mul_f32_e64 v52, -v158, s6                               // 0000000085A8: D1050034 20000D9E
	v_mul_f32_e64 v53, -v159, s6                               // 0000000085B0: D1050035 20000D9F
	v_exp_f32_e32 v50, v50                                     // 0000000085B8: 7E644132
	v_exp_f32_e32 v51, v51                                     // 0000000085BC: 7E664133
	v_exp_f32_e32 v52, v52                                     // 0000000085C0: 7E684134
	v_exp_f32_e32 v53, v53                                     // 0000000085C4: 7E6A4135
	buffer_load_dwordx4 a[60:63], v45, s[12:15], 0 offen       // 0000000085C8: E05C1000 80833C2D
	s_add_u32 s12, s78, s12                                    // 0000000085D0: 800C0C4E
	s_addc_u32 s13, 0, s13                                     // 0000000085D4: 820D0D80
	v_add_f32_e64 v50, v50, 1.0                                // 0000000085D8: D1010032 0001E532
	v_add_f32_e64 v51, v51, 1.0                                // 0000000085E0: D1010033 0001E533
	v_add_f32_e64 v52, v52, 1.0                                // 0000000085E8: D1010034 0001E534
	v_add_f32_e64 v53, v53, 1.0                                // 0000000085F0: D1010035 0001E535
	v_rcp_f32_e32 v50, v50                                     // 0000000085F8: 7E644532
	v_rcp_f32_e32 v51, v51                                     // 0000000085FC: 7E664533
	v_rcp_f32_e32 v52, v52                                     // 000000008600: 7E684534
	v_rcp_f32_e32 v53, v53                                     // 000000008604: 7E6A4535
	v_mul_f32_e32 v156, v156, v50                              // 000000008608: 0B38659C
	v_mul_f32_e32 v157, v157, v51                              // 00000000860C: 0B3A679D
	v_mul_f32_e32 v158, v158, v52                              // 000000008610: 0B3C699E
	v_mul_f32_e32 v159, v159, v53                              // 000000008614: 0B3E6B9F
	s_waitcnt vmcnt(28)                                        // 000000008618: BF8C4F7C
	buffer_load_dwordx4 a[64:67], v42, s[12:15], 0 offen       // 00000000861C: E05C1000 8083402A
	v_mul_f32_e64 v50, -v160, s6                               // 000000008624: D1050032 20000DA0
	v_mul_f32_e64 v51, -v161, s6                               // 00000000862C: D1050033 20000DA1
	v_mul_f32_e64 v52, -v162, s6                               // 000000008634: D1050034 20000DA2
	v_mul_f32_e64 v53, -v163, s6                               // 00000000863C: D1050035 20000DA3
	v_exp_f32_e32 v50, v50                                     // 000000008644: 7E644132
	v_exp_f32_e32 v51, v51                                     // 000000008648: 7E664133
	v_exp_f32_e32 v52, v52                                     // 00000000864C: 7E684134
	v_exp_f32_e32 v53, v53                                     // 000000008650: 7E6A4135
	buffer_load_dwordx4 a[68:71], v43, s[12:15], 0 offen       // 000000008654: E05C1000 8083442B
	v_add_f32_e64 v50, v50, 1.0                                // 00000000865C: D1010032 0001E532
	v_add_f32_e64 v51, v51, 1.0                                // 000000008664: D1010033 0001E533
	v_add_f32_e64 v52, v52, 1.0                                // 00000000866C: D1010034 0001E534
	v_add_f32_e64 v53, v53, 1.0                                // 000000008674: D1010035 0001E535
	v_rcp_f32_e32 v50, v50                                     // 00000000867C: 7E644532
	v_rcp_f32_e32 v51, v51                                     // 000000008680: 7E664533
	v_rcp_f32_e32 v52, v52                                     // 000000008684: 7E684534
	v_rcp_f32_e32 v53, v53                                     // 000000008688: 7E6A4535
	v_mul_f32_e32 v160, v160, v50                              // 00000000868C: 0B4065A0
	v_mul_f32_e32 v161, v161, v51                              // 000000008690: 0B4267A1
	v_mul_f32_e32 v162, v162, v52                              // 000000008694: 0B4469A2
	v_mul_f32_e32 v163, v163, v53                              // 000000008698: 0B466BA3
	buffer_load_dwordx4 a[72:75], v44, s[12:15], 0 offen       // 00000000869C: E05C1000 8083482C
	v_mul_f32_e64 v50, -v164, s6                               // 0000000086A4: D1050032 20000DA4
	v_mul_f32_e64 v51, -v165, s6                               // 0000000086AC: D1050033 20000DA5
	v_mul_f32_e64 v52, -v166, s6                               // 0000000086B4: D1050034 20000DA6
	v_mul_f32_e64 v53, -v167, s6                               // 0000000086BC: D1050035 20000DA7
	v_exp_f32_e32 v50, v50                                     // 0000000086C4: 7E644132
	v_exp_f32_e32 v51, v51                                     // 0000000086C8: 7E664133
	v_exp_f32_e32 v52, v52                                     // 0000000086CC: 7E684134
	v_exp_f32_e32 v53, v53                                     // 0000000086D0: 7E6A4135
	buffer_load_dwordx4 a[76:79], v45, s[12:15], 0 offen       // 0000000086D4: E05C1000 80834C2D
	s_add_u32 s12, s78, s12                                    // 0000000086DC: 800C0C4E
	s_addc_u32 s13, 0, s13                                     // 0000000086E0: 820D0D80
	v_add_f32_e64 v50, v50, 1.0                                // 0000000086E4: D1010032 0001E532
	v_add_f32_e64 v51, v51, 1.0                                // 0000000086EC: D1010033 0001E533
	v_add_f32_e64 v52, v52, 1.0                                // 0000000086F4: D1010034 0001E534
	v_add_f32_e64 v53, v53, 1.0                                // 0000000086FC: D1010035 0001E535
	v_rcp_f32_e32 v50, v50                                     // 000000008704: 7E644532
	v_rcp_f32_e32 v51, v51                                     // 000000008708: 7E664533
	v_rcp_f32_e32 v52, v52                                     // 00000000870C: 7E684534
	v_rcp_f32_e32 v53, v53                                     // 000000008710: 7E6A4535
	v_mul_f32_e32 v164, v164, v50                              // 000000008714: 0B4865A4
	v_mul_f32_e32 v165, v165, v51                              // 000000008718: 0B4A67A5
	v_mul_f32_e32 v166, v166, v52                              // 00000000871C: 0B4C69A6
	v_mul_f32_e32 v167, v167, v53                              // 000000008720: 0B4E6BA7
	s_waitcnt vmcnt(28)                                        // 000000008724: BF8C4F7C
	buffer_load_dwordx4 a[80:83], v42, s[12:15], 0 offen       // 000000008728: E05C1000 8083502A
	v_mul_f32_e64 v50, -v168, s6                               // 000000008730: D1050032 20000DA8
	v_mul_f32_e64 v51, -v169, s6                               // 000000008738: D1050033 20000DA9
	v_mul_f32_e64 v52, -v170, s6                               // 000000008740: D1050034 20000DAA
	v_mul_f32_e64 v53, -v171, s6                               // 000000008748: D1050035 20000DAB
	v_exp_f32_e32 v50, v50                                     // 000000008750: 7E644132
	v_exp_f32_e32 v51, v51                                     // 000000008754: 7E664133
	v_exp_f32_e32 v52, v52                                     // 000000008758: 7E684134
	v_exp_f32_e32 v53, v53                                     // 00000000875C: 7E6A4135
	buffer_load_dwordx4 a[84:87], v43, s[12:15], 0 offen       // 000000008760: E05C1000 8083542B
	v_add_f32_e64 v50, v50, 1.0                                // 000000008768: D1010032 0001E532
	v_add_f32_e64 v51, v51, 1.0                                // 000000008770: D1010033 0001E533
	v_add_f32_e64 v52, v52, 1.0                                // 000000008778: D1010034 0001E534
	v_add_f32_e64 v53, v53, 1.0                                // 000000008780: D1010035 0001E535
	v_rcp_f32_e32 v50, v50                                     // 000000008788: 7E644532
	v_rcp_f32_e32 v51, v51                                     // 00000000878C: 7E664533
	v_rcp_f32_e32 v52, v52                                     // 000000008790: 7E684534
	v_rcp_f32_e32 v53, v53                                     // 000000008794: 7E6A4535
	v_mul_f32_e32 v168, v168, v50                              // 000000008798: 0B5065A8
	v_mul_f32_e32 v169, v169, v51                              // 00000000879C: 0B5267A9
	v_mul_f32_e32 v170, v170, v52                              // 0000000087A0: 0B5469AA
	v_mul_f32_e32 v171, v171, v53                              // 0000000087A4: 0B566BAB
	buffer_load_dwordx4 a[88:91], v44, s[12:15], 0 offen       // 0000000087A8: E05C1000 8083582C
	v_mul_f32_e64 v50, -v172, s6                               // 0000000087B0: D1050032 20000DAC
	v_mul_f32_e64 v51, -v173, s6                               // 0000000087B8: D1050033 20000DAD
	v_mul_f32_e64 v52, -v174, s6                               // 0000000087C0: D1050034 20000DAE
	v_mul_f32_e64 v53, -v175, s6                               // 0000000087C8: D1050035 20000DAF
	v_exp_f32_e32 v50, v50                                     // 0000000087D0: 7E644132
	v_exp_f32_e32 v51, v51                                     // 0000000087D4: 7E664133
	v_exp_f32_e32 v52, v52                                     // 0000000087D8: 7E684134
	v_exp_f32_e32 v53, v53                                     // 0000000087DC: 7E6A4135
	buffer_load_dwordx4 a[92:95], v45, s[12:15], 0 offen       // 0000000087E0: E05C1000 80835C2D
	s_add_u32 s12, s78, s12                                    // 0000000087E8: 800C0C4E
	s_addc_u32 s13, 0, s13                                     // 0000000087EC: 820D0D80
	v_add_f32_e64 v50, v50, 1.0                                // 0000000087F0: D1010032 0001E532
	v_add_f32_e64 v51, v51, 1.0                                // 0000000087F8: D1010033 0001E533
	v_add_f32_e64 v52, v52, 1.0                                // 000000008800: D1010034 0001E534
	v_add_f32_e64 v53, v53, 1.0                                // 000000008808: D1010035 0001E535
	v_rcp_f32_e32 v50, v50                                     // 000000008810: 7E644532
	v_rcp_f32_e32 v51, v51                                     // 000000008814: 7E664533
	v_rcp_f32_e32 v52, v52                                     // 000000008818: 7E684534
	v_rcp_f32_e32 v53, v53                                     // 00000000881C: 7E6A4535
	v_mul_f32_e32 v172, v172, v50                              // 000000008820: 0B5865AC
	v_mul_f32_e32 v173, v173, v51                              // 000000008824: 0B5A67AD
	v_mul_f32_e32 v174, v174, v52                              // 000000008828: 0B5C69AE
	v_mul_f32_e32 v175, v175, v53                              // 00000000882C: 0B5E6BAF
	s_waitcnt vmcnt(28)                                        // 000000008830: BF8C4F7C
	buffer_load_dwordx4 a[96:99], v42, s[12:15], 0 offen       // 000000008834: E05C1000 8083602A
	v_mul_f32_e64 v50, -v176, s6                               // 00000000883C: D1050032 20000DB0
	v_mul_f32_e64 v51, -v177, s6                               // 000000008844: D1050033 20000DB1
	v_mul_f32_e64 v52, -v178, s6                               // 00000000884C: D1050034 20000DB2
	v_mul_f32_e64 v53, -v179, s6                               // 000000008854: D1050035 20000DB3
	v_exp_f32_e32 v50, v50                                     // 00000000885C: 7E644132
	v_exp_f32_e32 v51, v51                                     // 000000008860: 7E664133
	v_exp_f32_e32 v52, v52                                     // 000000008864: 7E684134
	v_exp_f32_e32 v53, v53                                     // 000000008868: 7E6A4135
	buffer_load_dwordx4 a[100:103], v43, s[12:15], 0 offen     // 00000000886C: E05C1000 8083642B
	v_add_f32_e64 v50, v50, 1.0                                // 000000008874: D1010032 0001E532
	v_add_f32_e64 v51, v51, 1.0                                // 00000000887C: D1010033 0001E533
	v_add_f32_e64 v52, v52, 1.0                                // 000000008884: D1010034 0001E534
	v_add_f32_e64 v53, v53, 1.0                                // 00000000888C: D1010035 0001E535
	v_rcp_f32_e32 v50, v50                                     // 000000008894: 7E644532
	v_rcp_f32_e32 v51, v51                                     // 000000008898: 7E664533
	v_rcp_f32_e32 v52, v52                                     // 00000000889C: 7E684534
	v_rcp_f32_e32 v53, v53                                     // 0000000088A0: 7E6A4535
	v_mul_f32_e32 v176, v176, v50                              // 0000000088A4: 0B6065B0
	v_mul_f32_e32 v177, v177, v51                              // 0000000088A8: 0B6267B1
	v_mul_f32_e32 v178, v178, v52                              // 0000000088AC: 0B6469B2
	v_mul_f32_e32 v179, v179, v53                              // 0000000088B0: 0B666BB3
	buffer_load_dwordx4 a[104:107], v44, s[12:15], 0 offen     // 0000000088B4: E05C1000 8083682C
	v_mul_f32_e64 v50, -v180, s6                               // 0000000088BC: D1050032 20000DB4
	v_mul_f32_e64 v51, -v181, s6                               // 0000000088C4: D1050033 20000DB5
	v_mul_f32_e64 v52, -v182, s6                               // 0000000088CC: D1050034 20000DB6
	v_mul_f32_e64 v53, -v183, s6                               // 0000000088D4: D1050035 20000DB7
	v_exp_f32_e32 v50, v50                                     // 0000000088DC: 7E644132
	v_exp_f32_e32 v51, v51                                     // 0000000088E0: 7E664133
	v_exp_f32_e32 v52, v52                                     // 0000000088E4: 7E684134
	v_exp_f32_e32 v53, v53                                     // 0000000088E8: 7E6A4135
	buffer_load_dwordx4 a[108:111], v45, s[12:15], 0 offen     // 0000000088EC: E05C1000 80836C2D
	s_add_u32 s12, s78, s12                                    // 0000000088F4: 800C0C4E
	s_addc_u32 s13, 0, s13                                     // 0000000088F8: 820D0D80
	v_add_f32_e64 v50, v50, 1.0                                // 0000000088FC: D1010032 0001E532
	v_add_f32_e64 v51, v51, 1.0                                // 000000008904: D1010033 0001E533
	v_add_f32_e64 v52, v52, 1.0                                // 00000000890C: D1010034 0001E534
	v_add_f32_e64 v53, v53, 1.0                                // 000000008914: D1010035 0001E535
	v_rcp_f32_e32 v50, v50                                     // 00000000891C: 7E644532
	v_rcp_f32_e32 v51, v51                                     // 000000008920: 7E664533
	v_rcp_f32_e32 v52, v52                                     // 000000008924: 7E684534
	v_rcp_f32_e32 v53, v53                                     // 000000008928: 7E6A4535
	v_mul_f32_e32 v180, v180, v50                              // 00000000892C: 0B6865B4
	v_mul_f32_e32 v181, v181, v51                              // 000000008930: 0B6A67B5
	v_mul_f32_e32 v182, v182, v52                              // 000000008934: 0B6C69B6
	v_mul_f32_e32 v183, v183, v53                              // 000000008938: 0B6E6BB7
	s_waitcnt vmcnt(28)                                        // 00000000893C: BF8C4F7C
	buffer_load_dwordx4 a[112:115], v42, s[12:15], 0 offen     // 000000008940: E05C1000 8083702A
	v_mul_f32_e64 v50, -v184, s6                               // 000000008948: D1050032 20000DB8
	v_mul_f32_e64 v51, -v185, s6                               // 000000008950: D1050033 20000DB9
	v_mul_f32_e64 v52, -v186, s6                               // 000000008958: D1050034 20000DBA
	v_mul_f32_e64 v53, -v187, s6                               // 000000008960: D1050035 20000DBB
	v_exp_f32_e32 v50, v50                                     // 000000008968: 7E644132
	v_exp_f32_e32 v51, v51                                     // 00000000896C: 7E664133
	v_exp_f32_e32 v52, v52                                     // 000000008970: 7E684134
	v_exp_f32_e32 v53, v53                                     // 000000008974: 7E6A4135
	buffer_load_dwordx4 a[116:119], v43, s[12:15], 0 offen     // 000000008978: E05C1000 8083742B
	v_add_f32_e64 v50, v50, 1.0                                // 000000008980: D1010032 0001E532
	v_add_f32_e64 v51, v51, 1.0                                // 000000008988: D1010033 0001E533
	v_add_f32_e64 v52, v52, 1.0                                // 000000008990: D1010034 0001E534
	v_add_f32_e64 v53, v53, 1.0                                // 000000008998: D1010035 0001E535
	v_rcp_f32_e32 v50, v50                                     // 0000000089A0: 7E644532
	v_rcp_f32_e32 v51, v51                                     // 0000000089A4: 7E664533
	v_rcp_f32_e32 v52, v52                                     // 0000000089A8: 7E684534
	v_rcp_f32_e32 v53, v53                                     // 0000000089AC: 7E6A4535
	v_mul_f32_e32 v184, v184, v50                              // 0000000089B0: 0B7065B8
	v_mul_f32_e32 v185, v185, v51                              // 0000000089B4: 0B7267B9
	v_mul_f32_e32 v186, v186, v52                              // 0000000089B8: 0B7469BA
	v_mul_f32_e32 v187, v187, v53                              // 0000000089BC: 0B766BBB
	buffer_load_dwordx4 a[120:123], v44, s[12:15], 0 offen     // 0000000089C0: E05C1000 8083782C
	v_mul_f32_e64 v50, -v188, s6                               // 0000000089C8: D1050032 20000DBC
	v_mul_f32_e64 v51, -v189, s6                               // 0000000089D0: D1050033 20000DBD
	v_mul_f32_e64 v52, -v190, s6                               // 0000000089D8: D1050034 20000DBE
	v_mul_f32_e64 v53, -v191, s6                               // 0000000089E0: D1050035 20000DBF
	v_exp_f32_e32 v50, v50                                     // 0000000089E8: 7E644132
	v_exp_f32_e32 v51, v51                                     // 0000000089EC: 7E664133
	v_exp_f32_e32 v52, v52                                     // 0000000089F0: 7E684134
	v_exp_f32_e32 v53, v53                                     // 0000000089F4: 7E6A4135
	buffer_load_dwordx4 a[124:127], v45, s[12:15], 0 offen     // 0000000089F8: E05C1000 80837C2D
	v_add_f32_e64 v50, v50, 1.0                                // 000000008A00: D1010032 0001E532
	v_add_f32_e64 v51, v51, 1.0                                // 000000008A08: D1010033 0001E533
	v_add_f32_e64 v52, v52, 1.0                                // 000000008A10: D1010034 0001E534
	v_add_f32_e64 v53, v53, 1.0                                // 000000008A18: D1010035 0001E535
	v_rcp_f32_e32 v50, v50                                     // 000000008A20: 7E644532
	v_rcp_f32_e32 v51, v51                                     // 000000008A24: 7E664533
	v_rcp_f32_e32 v52, v52                                     // 000000008A28: 7E684534
	v_rcp_f32_e32 v53, v53                                     // 000000008A2C: 7E6A4535
	v_mul_f32_e32 v188, v188, v50                              // 000000008A30: 0B7865BC
	v_mul_f32_e32 v189, v189, v51                              // 000000008A34: 0B7A67BD
	v_mul_f32_e32 v190, v190, v52                              // 000000008A38: 0B7C69BE
	v_mul_f32_e32 v191, v191, v53                              // 000000008A3C: 0B7E6BBF
	v_mul_f32_dpp v128, v18, v128 row_newbcast:0 row_mask:0xf bank_mask:0xf// 000000008A40: 0B0100FA FF015012
	v_mul_f32_dpp v129, v18, v129 row_newbcast:1 row_mask:0xf bank_mask:0xf// 000000008A48: 0B0302FA FF015112
	v_mul_f32_dpp v130, v18, v130 row_newbcast:2 row_mask:0xf bank_mask:0xf// 000000008A50: 0B0504FA FF015212
	v_mul_f32_dpp v131, v18, v131 row_newbcast:3 row_mask:0xf bank_mask:0xf// 000000008A58: 0B0706FA FF015312
	v_mul_f32_dpp v132, v18, v132 row_newbcast:0 row_mask:0xf bank_mask:0xf// 000000008A60: 0B0908FA FF015012
	v_mul_f32_dpp v133, v18, v133 row_newbcast:1 row_mask:0xf bank_mask:0xf// 000000008A68: 0B0B0AFA FF015112
	v_mul_f32_dpp v134, v18, v134 row_newbcast:2 row_mask:0xf bank_mask:0xf// 000000008A70: 0B0D0CFA FF015212
	v_mul_f32_dpp v135, v18, v135 row_newbcast:3 row_mask:0xf bank_mask:0xf// 000000008A78: 0B0F0EFA FF015312
	v_mul_f32_dpp v136, v18, v136 row_newbcast:4 row_mask:0xf bank_mask:0xf// 000000008A80: 0B1110FA FF015412
	v_mul_f32_dpp v137, v18, v137 row_newbcast:5 row_mask:0xf bank_mask:0xf// 000000008A88: 0B1312FA FF015512
	v_mul_f32_dpp v138, v18, v138 row_newbcast:6 row_mask:0xf bank_mask:0xf// 000000008A90: 0B1514FA FF015612
	v_mul_f32_dpp v139, v18, v139 row_newbcast:7 row_mask:0xf bank_mask:0xf// 000000008A98: 0B1716FA FF015712
	v_mul_f32_dpp v140, v18, v140 row_newbcast:4 row_mask:0xf bank_mask:0xf// 000000008AA0: 0B1918FA FF015412
	v_mul_f32_dpp v141, v18, v141 row_newbcast:5 row_mask:0xf bank_mask:0xf// 000000008AA8: 0B1B1AFA FF015512
	v_mul_f32_dpp v142, v18, v142 row_newbcast:6 row_mask:0xf bank_mask:0xf// 000000008AB0: 0B1D1CFA FF015612
	v_mul_f32_dpp v143, v18, v143 row_newbcast:7 row_mask:0xf bank_mask:0xf// 000000008AB8: 0B1F1EFA FF015712
	v_mul_f32_dpp v144, v18, v144 row_newbcast:8 row_mask:0xf bank_mask:0xf// 000000008AC0: 0B2120FA FF015812
	v_mul_f32_dpp v145, v18, v145 row_newbcast:9 row_mask:0xf bank_mask:0xf// 000000008AC8: 0B2322FA FF015912
	v_mul_f32_dpp v146, v18, v146 row_newbcast:10 row_mask:0xf bank_mask:0xf// 000000008AD0: 0B2524FA FF015A12
	v_mul_f32_dpp v147, v18, v147 row_newbcast:11 row_mask:0xf bank_mask:0xf// 000000008AD8: 0B2726FA FF015B12
	v_mul_f32_dpp v148, v18, v148 row_newbcast:8 row_mask:0xf bank_mask:0xf// 000000008AE0: 0B2928FA FF015812
	v_mul_f32_dpp v149, v18, v149 row_newbcast:9 row_mask:0xf bank_mask:0xf// 000000008AE8: 0B2B2AFA FF015912
	v_mul_f32_dpp v150, v18, v150 row_newbcast:10 row_mask:0xf bank_mask:0xf// 000000008AF0: 0B2D2CFA FF015A12
	v_mul_f32_dpp v151, v18, v151 row_newbcast:11 row_mask:0xf bank_mask:0xf// 000000008AF8: 0B2F2EFA FF015B12
	v_mul_f32_dpp v152, v18, v152 row_newbcast:12 row_mask:0xf bank_mask:0xf// 000000008B00: 0B3130FA FF015C12
	v_mul_f32_dpp v153, v18, v153 row_newbcast:13 row_mask:0xf bank_mask:0xf// 000000008B08: 0B3332FA FF015D12
	v_mul_f32_dpp v154, v18, v154 row_newbcast:14 row_mask:0xf bank_mask:0xf// 000000008B10: 0B3534FA FF015E12
	v_mul_f32_dpp v155, v18, v155 row_newbcast:15 row_mask:0xf bank_mask:0xf// 000000008B18: 0B3736FA FF015F12
	v_mul_f32_dpp v156, v18, v156 row_newbcast:12 row_mask:0xf bank_mask:0xf// 000000008B20: 0B3938FA FF015C12
	v_mul_f32_dpp v157, v18, v157 row_newbcast:13 row_mask:0xf bank_mask:0xf// 000000008B28: 0B3B3AFA FF015D12
	v_mul_f32_dpp v158, v18, v158 row_newbcast:14 row_mask:0xf bank_mask:0xf// 000000008B30: 0B3D3CFA FF015E12
	v_mul_f32_dpp v159, v18, v159 row_newbcast:15 row_mask:0xf bank_mask:0xf// 000000008B38: 0B3F3EFA FF015F12
	v_mul_f32_dpp v160, v19, v160 row_newbcast:0 row_mask:0xf bank_mask:0xf// 000000008B40: 0B4140FA FF015013
	v_mul_f32_dpp v161, v19, v161 row_newbcast:1 row_mask:0xf bank_mask:0xf// 000000008B48: 0B4342FA FF015113
	v_mul_f32_dpp v162, v19, v162 row_newbcast:2 row_mask:0xf bank_mask:0xf// 000000008B50: 0B4544FA FF015213
	v_mul_f32_dpp v163, v19, v163 row_newbcast:3 row_mask:0xf bank_mask:0xf// 000000008B58: 0B4746FA FF015313
	v_mul_f32_dpp v164, v19, v164 row_newbcast:0 row_mask:0xf bank_mask:0xf// 000000008B60: 0B4948FA FF015013
	v_mul_f32_dpp v165, v19, v165 row_newbcast:1 row_mask:0xf bank_mask:0xf// 000000008B68: 0B4B4AFA FF015113
	v_mul_f32_dpp v166, v19, v166 row_newbcast:2 row_mask:0xf bank_mask:0xf// 000000008B70: 0B4D4CFA FF015213
	v_mul_f32_dpp v167, v19, v167 row_newbcast:3 row_mask:0xf bank_mask:0xf// 000000008B78: 0B4F4EFA FF015313
	v_mul_f32_dpp v168, v19, v168 row_newbcast:4 row_mask:0xf bank_mask:0xf// 000000008B80: 0B5150FA FF015413
	v_mul_f32_dpp v169, v19, v169 row_newbcast:5 row_mask:0xf bank_mask:0xf// 000000008B88: 0B5352FA FF015513
	v_mul_f32_dpp v170, v19, v170 row_newbcast:6 row_mask:0xf bank_mask:0xf// 000000008B90: 0B5554FA FF015613
	v_mul_f32_dpp v171, v19, v171 row_newbcast:7 row_mask:0xf bank_mask:0xf// 000000008B98: 0B5756FA FF015713
	v_mul_f32_dpp v172, v19, v172 row_newbcast:4 row_mask:0xf bank_mask:0xf// 000000008BA0: 0B5958FA FF015413
	v_mul_f32_dpp v173, v19, v173 row_newbcast:5 row_mask:0xf bank_mask:0xf// 000000008BA8: 0B5B5AFA FF015513
	v_mul_f32_dpp v174, v19, v174 row_newbcast:6 row_mask:0xf bank_mask:0xf// 000000008BB0: 0B5D5CFA FF015613
	v_mul_f32_dpp v175, v19, v175 row_newbcast:7 row_mask:0xf bank_mask:0xf// 000000008BB8: 0B5F5EFA FF015713
	v_mul_f32_dpp v176, v19, v176 row_newbcast:8 row_mask:0xf bank_mask:0xf// 000000008BC0: 0B6160FA FF015813
	v_mul_f32_dpp v177, v19, v177 row_newbcast:9 row_mask:0xf bank_mask:0xf// 000000008BC8: 0B6362FA FF015913
	v_mul_f32_dpp v178, v19, v178 row_newbcast:10 row_mask:0xf bank_mask:0xf// 000000008BD0: 0B6564FA FF015A13
	v_mul_f32_dpp v179, v19, v179 row_newbcast:11 row_mask:0xf bank_mask:0xf// 000000008BD8: 0B6766FA FF015B13
	v_mul_f32_dpp v180, v19, v180 row_newbcast:8 row_mask:0xf bank_mask:0xf// 000000008BE0: 0B6968FA FF015813
	v_mul_f32_dpp v181, v19, v181 row_newbcast:9 row_mask:0xf bank_mask:0xf// 000000008BE8: 0B6B6AFA FF015913
	v_mul_f32_dpp v182, v19, v182 row_newbcast:10 row_mask:0xf bank_mask:0xf// 000000008BF0: 0B6D6CFA FF015A13
	v_mul_f32_dpp v183, v19, v183 row_newbcast:11 row_mask:0xf bank_mask:0xf// 000000008BF8: 0B6F6EFA FF015B13
	v_mul_f32_dpp v184, v19, v184 row_newbcast:12 row_mask:0xf bank_mask:0xf// 000000008C00: 0B7170FA FF015C13
	v_mul_f32_dpp v185, v19, v185 row_newbcast:13 row_mask:0xf bank_mask:0xf// 000000008C08: 0B7372FA FF015D13
	v_mul_f32_dpp v186, v19, v186 row_newbcast:14 row_mask:0xf bank_mask:0xf// 000000008C10: 0B7574FA FF015E13
	v_mul_f32_dpp v187, v19, v187 row_newbcast:15 row_mask:0xf bank_mask:0xf// 000000008C18: 0B7776FA FF015F13
	v_mul_f32_dpp v188, v19, v188 row_newbcast:12 row_mask:0xf bank_mask:0xf// 000000008C20: 0B7978FA FF015C13
	v_mul_f32_dpp v189, v19, v189 row_newbcast:13 row_mask:0xf bank_mask:0xf// 000000008C28: 0B7B7AFA FF015D13
	v_mul_f32_dpp v190, v19, v190 row_newbcast:14 row_mask:0xf bank_mask:0xf// 000000008C30: 0B7D7CFA FF015E13
	v_mul_f32_dpp v191, v19, v191 row_newbcast:15 row_mask:0xf bank_mask:0xf// 000000008C38: 0B7F7EFA FF015F13
	buffer_load_dword v12, v5, s[16:19], 0 offen               // 000000008C40: E0501000 80040C05
	v_mov_b32_e32 v22, 0x358637bd                              // 000000008C48: 7E2C02FF 358637BD
	v_mov_b32_e32 v23, 0x358637bd                              // 000000008C50: 7E2E02FF 358637BD
	v_max3_f32 v22, |v128|, |v129|, v22                        // 000000008C58: D1D30316 045B0380
	v_max3_f32 v22, |v130|, |v131|, v22                        // 000000008C60: D1D30316 045B0782
	v_max3_f32 v23, |v132|, |v133|, v23                        // 000000008C68: D1D30317 045F0B84
	v_max3_f32 v23, |v134|, |v135|, v23                        // 000000008C70: D1D30317 045F0F86
	v_max3_f32 v22, |v136|, |v137|, v22                        // 000000008C78: D1D30316 045B1388
	v_max3_f32 v22, |v138|, |v139|, v22                        // 000000008C80: D1D30316 045B178A
	v_max3_f32 v23, |v140|, |v141|, v23                        // 000000008C88: D1D30317 045F1B8C
	v_max3_f32 v23, |v142|, |v143|, v23                        // 000000008C90: D1D30317 045F1F8E
	v_max3_f32 v22, |v144|, |v145|, v22                        // 000000008C98: D1D30316 045B2390
	v_max3_f32 v22, |v146|, |v147|, v22                        // 000000008CA0: D1D30316 045B2792
	v_max3_f32 v23, |v148|, |v149|, v23                        // 000000008CA8: D1D30317 045F2B94
	v_max3_f32 v23, |v150|, |v151|, v23                        // 000000008CB0: D1D30317 045F2F96
	v_max3_f32 v22, |v152|, |v153|, v22                        // 000000008CB8: D1D30316 045B3398
	v_max3_f32 v22, |v154|, |v155|, v22                        // 000000008CC0: D1D30316 045B379A
	v_max3_f32 v23, |v156|, |v157|, v23                        // 000000008CC8: D1D30317 045F3B9C
	v_max3_f32 v23, |v158|, |v159|, v23                        // 000000008CD0: D1D30317 045F3F9E
	v_max3_f32 v22, |v160|, |v161|, v22                        // 000000008CD8: D1D30316 045B43A0
	v_max3_f32 v22, |v162|, |v163|, v22                        // 000000008CE0: D1D30316 045B47A2
	v_max3_f32 v23, |v164|, |v165|, v23                        // 000000008CE8: D1D30317 045F4BA4
	v_max3_f32 v23, |v166|, |v167|, v23                        // 000000008CF0: D1D30317 045F4FA6
	v_max3_f32 v22, |v168|, |v169|, v22                        // 000000008CF8: D1D30316 045B53A8
	v_max3_f32 v22, |v170|, |v171|, v22                        // 000000008D00: D1D30316 045B57AA
	v_max3_f32 v23, |v172|, |v173|, v23                        // 000000008D08: D1D30317 045F5BAC
	v_max3_f32 v23, |v174|, |v175|, v23                        // 000000008D10: D1D30317 045F5FAE
	v_max3_f32 v22, |v176|, |v177|, v22                        // 000000008D18: D1D30316 045B63B0
	v_max3_f32 v22, |v178|, |v179|, v22                        // 000000008D20: D1D30316 045B67B2
	v_max3_f32 v23, |v180|, |v181|, v23                        // 000000008D28: D1D30317 045F6BB4
	v_max3_f32 v23, |v182|, |v183|, v23                        // 000000008D30: D1D30317 045F6FB6
	v_max3_f32 v22, |v184|, |v185|, v22                        // 000000008D38: D1D30316 045B73B8
	v_max3_f32 v22, |v186|, |v187|, v22                        // 000000008D40: D1D30316 045B77BA
	v_max3_f32 v23, |v188|, |v189|, v23                        // 000000008D48: D1D30317 045F7BBC
	v_max3_f32 v23, |v190|, |v191|, v23                        // 000000008D50: D1D30317 045F7FBE
	v_lshlrev_b32_e32 v50, 3, v0                               // 000000008D58: 24640083
	s_mul_i32 s60, 0x200, s7                                   // 000000008D5C: 923C07FF 00000200
	v_add_u32_e32 v50, s60, v50                                // 000000008D64: 6864643C
	ds_write_b64 v50, v[22:23] offset:16640                    // 000000008D68: D89A4100 00001632
	s_waitcnt lgkmcnt(0)                                       // 000000008D70: BF8CC07F
	s_barrier                                                  // 000000008D74: BF8A0000
	v_and_b32_e32 v50, 15, v0                                  // 000000008D78: 2664008F
	v_lshlrev_b32_e32 v50, 3, v50                              // 000000008D7C: 24646483
	ds_read_b64 v[96:97], v50 offset:16640                     // 000000008D80: D8EC4100 60000032
	ds_read_b64 v[98:99], v50 offset:16768                     // 000000008D88: D8EC4180 62000032
	ds_read_b64 v[100:101], v50 offset:16896                   // 000000008D90: D8EC4200 64000032
	ds_read_b64 v[102:103], v50 offset:17024                   // 000000008D98: D8EC4280 66000032
	ds_read_b64 v[104:105], v50 offset:17152                   // 000000008DA0: D8EC4300 68000032
	ds_read_b64 v[106:107], v50 offset:17280                   // 000000008DA8: D8EC4380 6A000032
	ds_read_b64 v[108:109], v50 offset:17408                   // 000000008DB0: D8EC4400 6C000032
	ds_read_b64 v[110:111], v50 offset:17536                   // 000000008DB8: D8EC4480 6E000032
	ds_read_b64 v[112:113], v50 offset:17664                   // 000000008DC0: D8EC4500 70000032
	ds_read_b64 v[114:115], v50 offset:17792                   // 000000008DC8: D8EC4580 72000032
	ds_read_b64 v[116:117], v50 offset:17920                   // 000000008DD0: D8EC4600 74000032
	ds_read_b64 v[118:119], v50 offset:18048                   // 000000008DD8: D8EC4680 76000032
	ds_read_b64 v[120:121], v50 offset:18176                   // 000000008DE0: D8EC4700 78000032
	ds_read_b64 v[122:123], v50 offset:18304                   // 000000008DE8: D8EC4780 7A000032
	ds_read_b64 v[124:125], v50 offset:18432                   // 000000008DF0: D8EC4800 7C000032
	ds_read_b64 v[126:127], v50 offset:18560                   // 000000008DF8: D8EC4880 7E000032
	s_waitcnt lgkmcnt(0)                                       // 000000008E00: BF8CC07F
	v_max3_f32 v22, |v96|, |v98|, v22                          // 000000008E04: D1D30316 045AC560
	v_max3_f32 v23, |v97|, |v99|, v23                          // 000000008E0C: D1D30317 045EC761
	v_max3_f32 v22, |v100|, |v102|, v22                        // 000000008E14: D1D30316 045ACD64
	v_max3_f32 v23, |v101|, |v103|, v23                        // 000000008E1C: D1D30317 045ECF65
	v_max3_f32 v22, |v104|, |v106|, v22                        // 000000008E24: D1D30316 045AD568
	v_max3_f32 v23, |v105|, |v107|, v23                        // 000000008E2C: D1D30317 045ED769
	v_max3_f32 v22, |v108|, |v110|, v22                        // 000000008E34: D1D30316 045ADD6C
	v_max3_f32 v23, |v109|, |v111|, v23                        // 000000008E3C: D1D30317 045EDF6D
	v_max3_f32 v22, |v112|, |v114|, v22                        // 000000008E44: D1D30316 045AE570
	v_max3_f32 v23, |v113|, |v115|, v23                        // 000000008E4C: D1D30317 045EE771
	v_max3_f32 v22, |v116|, |v118|, v22                        // 000000008E54: D1D30316 045AED74
	v_max3_f32 v23, |v117|, |v119|, v23                        // 000000008E5C: D1D30317 045EEF75
	v_max3_f32 v22, |v120|, |v122|, v22                        // 000000008E64: D1D30316 045AF578
	v_max3_f32 v23, |v121|, |v123|, v23                        // 000000008E6C: D1D30317 045EF779
	v_max3_f32 v22, |v124|, |v126|, v22                        // 000000008E74: D1D30316 045AFD7C
	v_max3_f32 v23, |v125|, |v127|, v23                        // 000000008E7C: D1D30317 045EFF7D
	v_rcp_f32_e32 v22, v22                                     // 000000008E84: 7E2C4516
	v_rcp_f32_e32 v23, v23                                     // 000000008E88: 7E2E4517
	v_mul_f32_e32 v22, 0x42fe0000, v22                         // 000000008E8C: 0A2C2CFF 42FE0000
	v_mul_f32_e32 v23, 0x42fe0000, v23                         // 000000008E94: 0A2E2EFF 42FE0000
	v_mul_f32_e32 v128, v22, v128                              // 000000008E9C: 0B010116
	v_mul_f32_e32 v129, v22, v129                              // 000000008EA0: 0B030316
	v_mul_f32_e32 v130, v22, v130                              // 000000008EA4: 0B050516
	v_mul_f32_e32 v131, v22, v131                              // 000000008EA8: 0B070716
	v_cvt_i32_f32_e32 v128, v128                               // 000000008EAC: 7F001180
	v_cvt_i32_f32_e32 v129, v129                               // 000000008EB0: 7F021181
	v_cvt_i32_f32_e32 v130, v130                               // 000000008EB4: 7F041182
	v_cvt_i32_f32_e32 v131, v131                               // 000000008EB8: 7F061183
	v_perm_b32 v128, v129, v128, s53                           // 000000008EBC: D1ED0080 00D70181
	v_perm_b32 v128, v130, v128, s54                           // 000000008EC4: D1ED0080 00DB0182
	v_perm_b32 v128, v131, v128, s55                           // 000000008ECC: D1ED0080 00DF0183
	v_mul_f32_e32 v132, v23, v132                              // 000000008ED4: 0B090917
	v_mul_f32_e32 v133, v23, v133                              // 000000008ED8: 0B0B0B17
	v_mul_f32_e32 v134, v23, v134                              // 000000008EDC: 0B0D0D17
	v_mul_f32_e32 v135, v23, v135                              // 000000008EE0: 0B0F0F17
	v_cvt_i32_f32_e32 v132, v132                               // 000000008EE4: 7F081184
	v_cvt_i32_f32_e32 v133, v133                               // 000000008EE8: 7F0A1185
	v_cvt_i32_f32_e32 v134, v134                               // 000000008EEC: 7F0C1186
	v_cvt_i32_f32_e32 v135, v135                               // 000000008EF0: 7F0E1187
	v_perm_b32 v129, v133, v132, s53                           // 000000008EF4: D1ED0081 00D70985
	v_perm_b32 v129, v134, v129, s54                           // 000000008EFC: D1ED0081 00DB0386
	v_perm_b32 v129, v135, v129, s55                           // 000000008F04: D1ED0081 00DF0387
	v_mul_f32_e32 v136, v22, v136                              // 000000008F0C: 0B111116
	v_mul_f32_e32 v137, v22, v137                              // 000000008F10: 0B131316
	v_mul_f32_e32 v138, v22, v138                              // 000000008F14: 0B151516
	v_mul_f32_e32 v139, v22, v139                              // 000000008F18: 0B171716
	v_cvt_i32_f32_e32 v136, v136                               // 000000008F1C: 7F101188
	v_cvt_i32_f32_e32 v137, v137                               // 000000008F20: 7F121189
	v_cvt_i32_f32_e32 v138, v138                               // 000000008F24: 7F14118A
	v_cvt_i32_f32_e32 v139, v139                               // 000000008F28: 7F16118B
	v_perm_b32 v130, v137, v136, s53                           // 000000008F2C: D1ED0082 00D71189
	v_perm_b32 v130, v138, v130, s54                           // 000000008F34: D1ED0082 00DB058A
	v_perm_b32 v130, v139, v130, s55                           // 000000008F3C: D1ED0082 00DF058B
	v_mul_f32_e32 v140, v23, v140                              // 000000008F44: 0B191917
	v_mul_f32_e32 v141, v23, v141                              // 000000008F48: 0B1B1B17
	v_mul_f32_e32 v142, v23, v142                              // 000000008F4C: 0B1D1D17
	v_mul_f32_e32 v143, v23, v143                              // 000000008F50: 0B1F1F17
	v_cvt_i32_f32_e32 v140, v140                               // 000000008F54: 7F18118C
	v_cvt_i32_f32_e32 v141, v141                               // 000000008F58: 7F1A118D
	v_cvt_i32_f32_e32 v142, v142                               // 000000008F5C: 7F1C118E
	v_cvt_i32_f32_e32 v143, v143                               // 000000008F60: 7F1E118F
	v_perm_b32 v131, v141, v140, s53                           // 000000008F64: D1ED0083 00D7198D
	v_perm_b32 v131, v142, v131, s54                           // 000000008F6C: D1ED0083 00DB078E
	v_perm_b32 v131, v143, v131, s55                           // 000000008F74: D1ED0083 00DF078F
	v_mul_f32_e32 v144, v22, v144                              // 000000008F7C: 0B212116
	v_mul_f32_e32 v145, v22, v145                              // 000000008F80: 0B232316
	v_mul_f32_e32 v146, v22, v146                              // 000000008F84: 0B252516
	v_mul_f32_e32 v147, v22, v147                              // 000000008F88: 0B272716
	v_cvt_i32_f32_e32 v144, v144                               // 000000008F8C: 7F201190
	v_cvt_i32_f32_e32 v145, v145                               // 000000008F90: 7F221191
	v_cvt_i32_f32_e32 v146, v146                               // 000000008F94: 7F241192
	v_cvt_i32_f32_e32 v147, v147                               // 000000008F98: 7F261193
	v_perm_b32 v132, v145, v144, s53                           // 000000008F9C: D1ED0084 00D72191
	v_perm_b32 v132, v146, v132, s54                           // 000000008FA4: D1ED0084 00DB0992
	v_perm_b32 v132, v147, v132, s55                           // 000000008FAC: D1ED0084 00DF0993
	v_mul_f32_e32 v148, v23, v148                              // 000000008FB4: 0B292917
	v_mul_f32_e32 v149, v23, v149                              // 000000008FB8: 0B2B2B17
	v_mul_f32_e32 v150, v23, v150                              // 000000008FBC: 0B2D2D17
	v_mul_f32_e32 v151, v23, v151                              // 000000008FC0: 0B2F2F17
	v_cvt_i32_f32_e32 v148, v148                               // 000000008FC4: 7F281194
	v_cvt_i32_f32_e32 v149, v149                               // 000000008FC8: 7F2A1195
	v_cvt_i32_f32_e32 v150, v150                               // 000000008FCC: 7F2C1196
	v_cvt_i32_f32_e32 v151, v151                               // 000000008FD0: 7F2E1197
	v_perm_b32 v133, v149, v148, s53                           // 000000008FD4: D1ED0085 00D72995
	v_perm_b32 v133, v150, v133, s54                           // 000000008FDC: D1ED0085 00DB0B96
	v_perm_b32 v133, v151, v133, s55                           // 000000008FE4: D1ED0085 00DF0B97
	v_mul_f32_e32 v152, v22, v152                              // 000000008FEC: 0B313116
	v_mul_f32_e32 v153, v22, v153                              // 000000008FF0: 0B333316
	v_mul_f32_e32 v154, v22, v154                              // 000000008FF4: 0B353516
	v_mul_f32_e32 v155, v22, v155                              // 000000008FF8: 0B373716
	v_cvt_i32_f32_e32 v152, v152                               // 000000008FFC: 7F301198
	v_cvt_i32_f32_e32 v153, v153                               // 000000009000: 7F321199
	v_cvt_i32_f32_e32 v154, v154                               // 000000009004: 7F34119A
	v_cvt_i32_f32_e32 v155, v155                               // 000000009008: 7F36119B
	v_perm_b32 v134, v153, v152, s53                           // 00000000900C: D1ED0086 00D73199
	v_perm_b32 v134, v154, v134, s54                           // 000000009014: D1ED0086 00DB0D9A
	v_perm_b32 v134, v155, v134, s55                           // 00000000901C: D1ED0086 00DF0D9B
	v_mul_f32_e32 v156, v23, v156                              // 000000009024: 0B393917
	v_mul_f32_e32 v157, v23, v157                              // 000000009028: 0B3B3B17
	v_mul_f32_e32 v158, v23, v158                              // 00000000902C: 0B3D3D17
	v_mul_f32_e32 v159, v23, v159                              // 000000009030: 0B3F3F17
	v_cvt_i32_f32_e32 v156, v156                               // 000000009034: 7F38119C
	v_cvt_i32_f32_e32 v157, v157                               // 000000009038: 7F3A119D
	v_cvt_i32_f32_e32 v158, v158                               // 00000000903C: 7F3C119E
	v_cvt_i32_f32_e32 v159, v159                               // 000000009040: 7F3E119F
	v_perm_b32 v135, v157, v156, s53                           // 000000009044: D1ED0087 00D7399D
	v_perm_b32 v135, v158, v135, s54                           // 00000000904C: D1ED0087 00DB0F9E
	v_perm_b32 v135, v159, v135, s55                           // 000000009054: D1ED0087 00DF0F9F
	v_mul_f32_e32 v160, v22, v160                              // 00000000905C: 0B414116
	v_mul_f32_e32 v161, v22, v161                              // 000000009060: 0B434316
	v_mul_f32_e32 v162, v22, v162                              // 000000009064: 0B454516
	v_mul_f32_e32 v163, v22, v163                              // 000000009068: 0B474716
	v_cvt_i32_f32_e32 v160, v160                               // 00000000906C: 7F4011A0
	v_cvt_i32_f32_e32 v161, v161                               // 000000009070: 7F4211A1
	v_cvt_i32_f32_e32 v162, v162                               // 000000009074: 7F4411A2
	v_cvt_i32_f32_e32 v163, v163                               // 000000009078: 7F4611A3
	v_perm_b32 v136, v161, v160, s53                           // 00000000907C: D1ED0088 00D741A1
	v_perm_b32 v136, v162, v136, s54                           // 000000009084: D1ED0088 00DB11A2
	v_perm_b32 v136, v163, v136, s55                           // 00000000908C: D1ED0088 00DF11A3
	v_mul_f32_e32 v164, v23, v164                              // 000000009094: 0B494917
	v_mul_f32_e32 v165, v23, v165                              // 000000009098: 0B4B4B17
	v_mul_f32_e32 v166, v23, v166                              // 00000000909C: 0B4D4D17
	v_mul_f32_e32 v167, v23, v167                              // 0000000090A0: 0B4F4F17
	v_cvt_i32_f32_e32 v164, v164                               // 0000000090A4: 7F4811A4
	v_cvt_i32_f32_e32 v165, v165                               // 0000000090A8: 7F4A11A5
	v_cvt_i32_f32_e32 v166, v166                               // 0000000090AC: 7F4C11A6
	v_cvt_i32_f32_e32 v167, v167                               // 0000000090B0: 7F4E11A7
	v_perm_b32 v137, v165, v164, s53                           // 0000000090B4: D1ED0089 00D749A5
	v_perm_b32 v137, v166, v137, s54                           // 0000000090BC: D1ED0089 00DB13A6
	v_perm_b32 v137, v167, v137, s55                           // 0000000090C4: D1ED0089 00DF13A7
	v_mul_f32_e32 v168, v22, v168                              // 0000000090CC: 0B515116
	v_mul_f32_e32 v169, v22, v169                              // 0000000090D0: 0B535316
	v_mul_f32_e32 v170, v22, v170                              // 0000000090D4: 0B555516
	v_mul_f32_e32 v171, v22, v171                              // 0000000090D8: 0B575716
	v_cvt_i32_f32_e32 v168, v168                               // 0000000090DC: 7F5011A8
	v_cvt_i32_f32_e32 v169, v169                               // 0000000090E0: 7F5211A9
	v_cvt_i32_f32_e32 v170, v170                               // 0000000090E4: 7F5411AA
	v_cvt_i32_f32_e32 v171, v171                               // 0000000090E8: 7F5611AB
	v_perm_b32 v138, v169, v168, s53                           // 0000000090EC: D1ED008A 00D751A9
	v_perm_b32 v138, v170, v138, s54                           // 0000000090F4: D1ED008A 00DB15AA
	v_perm_b32 v138, v171, v138, s55                           // 0000000090FC: D1ED008A 00DF15AB
	v_mul_f32_e32 v172, v23, v172                              // 000000009104: 0B595917
	v_mul_f32_e32 v173, v23, v173                              // 000000009108: 0B5B5B17
	v_mul_f32_e32 v174, v23, v174                              // 00000000910C: 0B5D5D17
	v_mul_f32_e32 v175, v23, v175                              // 000000009110: 0B5F5F17
	v_cvt_i32_f32_e32 v172, v172                               // 000000009114: 7F5811AC
	v_cvt_i32_f32_e32 v173, v173                               // 000000009118: 7F5A11AD
	v_cvt_i32_f32_e32 v174, v174                               // 00000000911C: 7F5C11AE
	v_cvt_i32_f32_e32 v175, v175                               // 000000009120: 7F5E11AF
	v_perm_b32 v139, v173, v172, s53                           // 000000009124: D1ED008B 00D759AD
	v_perm_b32 v139, v174, v139, s54                           // 00000000912C: D1ED008B 00DB17AE
	v_perm_b32 v139, v175, v139, s55                           // 000000009134: D1ED008B 00DF17AF
	v_mul_f32_e32 v176, v22, v176                              // 00000000913C: 0B616116
	v_mul_f32_e32 v177, v22, v177                              // 000000009140: 0B636316
	v_mul_f32_e32 v178, v22, v178                              // 000000009144: 0B656516
	v_mul_f32_e32 v179, v22, v179                              // 000000009148: 0B676716
	v_cvt_i32_f32_e32 v176, v176                               // 00000000914C: 7F6011B0
	v_cvt_i32_f32_e32 v177, v177                               // 000000009150: 7F6211B1
	v_cvt_i32_f32_e32 v178, v178                               // 000000009154: 7F6411B2
	v_cvt_i32_f32_e32 v179, v179                               // 000000009158: 7F6611B3
	v_perm_b32 v140, v177, v176, s53                           // 00000000915C: D1ED008C 00D761B1
	v_perm_b32 v140, v178, v140, s54                           // 000000009164: D1ED008C 00DB19B2
	v_perm_b32 v140, v179, v140, s55                           // 00000000916C: D1ED008C 00DF19B3
	v_mul_f32_e32 v180, v23, v180                              // 000000009174: 0B696917
	v_mul_f32_e32 v181, v23, v181                              // 000000009178: 0B6B6B17
	v_mul_f32_e32 v182, v23, v182                              // 00000000917C: 0B6D6D17
	v_mul_f32_e32 v183, v23, v183                              // 000000009180: 0B6F6F17
	v_cvt_i32_f32_e32 v180, v180                               // 000000009184: 7F6811B4
	v_cvt_i32_f32_e32 v181, v181                               // 000000009188: 7F6A11B5
	v_cvt_i32_f32_e32 v182, v182                               // 00000000918C: 7F6C11B6
	v_cvt_i32_f32_e32 v183, v183                               // 000000009190: 7F6E11B7
	v_perm_b32 v141, v181, v180, s53                           // 000000009194: D1ED008D 00D769B5
	v_perm_b32 v141, v182, v141, s54                           // 00000000919C: D1ED008D 00DB1BB6
	v_perm_b32 v141, v183, v141, s55                           // 0000000091A4: D1ED008D 00DF1BB7
	v_mul_f32_e32 v184, v22, v184                              // 0000000091AC: 0B717116
	v_mul_f32_e32 v185, v22, v185                              // 0000000091B0: 0B737316
	v_mul_f32_e32 v186, v22, v186                              // 0000000091B4: 0B757516
	v_mul_f32_e32 v187, v22, v187                              // 0000000091B8: 0B777716
	v_cvt_i32_f32_e32 v184, v184                               // 0000000091BC: 7F7011B8
	v_cvt_i32_f32_e32 v185, v185                               // 0000000091C0: 7F7211B9
	v_cvt_i32_f32_e32 v186, v186                               // 0000000091C4: 7F7411BA
	v_cvt_i32_f32_e32 v187, v187                               // 0000000091C8: 7F7611BB
	v_perm_b32 v142, v185, v184, s53                           // 0000000091CC: D1ED008E 00D771B9
	v_perm_b32 v142, v186, v142, s54                           // 0000000091D4: D1ED008E 00DB1DBA
	v_perm_b32 v142, v187, v142, s55                           // 0000000091DC: D1ED008E 00DF1DBB
	v_mul_f32_e32 v188, v23, v188                              // 0000000091E4: 0B797917
	v_mul_f32_e32 v189, v23, v189                              // 0000000091E8: 0B7B7B17
	v_mul_f32_e32 v190, v23, v190                              // 0000000091EC: 0B7D7D17
	v_mul_f32_e32 v191, v23, v191                              // 0000000091F0: 0B7F7F17
	v_cvt_i32_f32_e32 v188, v188                               // 0000000091F4: 7F7811BC
	v_cvt_i32_f32_e32 v189, v189                               // 0000000091F8: 7F7A11BD
	v_cvt_i32_f32_e32 v190, v190                               // 0000000091FC: 7F7C11BE
	v_cvt_i32_f32_e32 v191, v191                               // 000000009200: 7F7E11BF
	v_perm_b32 v143, v189, v188, s53                           // 000000009204: D1ED008F 00D779BD
	v_perm_b32 v143, v190, v143, s54                           // 00000000920C: D1ED008F 00DB1FBE
	v_perm_b32 v143, v191, v143, s55                           // 000000009214: D1ED008F 00DF1FBF
	v_rcp_f32_e32 v24, v22                                     // 00000000921C: 7E304516
	v_rcp_f32_e32 v25, v23                                     // 000000009220: 7E324517
	v_lshrrev_b32_e32 v50, 5, v0                               // 000000009224: 20640085
	v_lshlrev_b32_e32 v51, 5, v50                              // 000000009228: 24666485
	v_and_b32_e32 v50, 31, v0                                  // 00000000922C: 2664009F
	v_lshrrev_b32_e32 v52, 4, v50                              // 000000009230: 20686484
	v_add_u32_e32 v51, v52, v51                                // 000000009234: 68666734
	v_and_b32_e32 v50, 15, v0                                  // 000000009238: 2664008F
	v_lshlrev_b32_e32 v50, 1, v50                              // 00000000923C: 24646481
	v_add_u32_e32 v51, v50, v51                                // 000000009240: 68666732
	v_lshlrev_b32_e32 v50, 2, v51                              // 000000009244: 24646682
	s_mul_i32 s60, 0x100, s7                                   // 000000009248: 923C07FF 00000100
	v_add_u32_e64 v50, v50, s60                                // 000000009250: D1340032 00007932
	ds_write_b32 v50, v128 offset:18688                        // 000000009258: D81A4900 00008032
	ds_write_b32 v50, v129 offset:26880                        // 000000009260: D81A6900 00008132
	ds_write_b32 v50, v130 offset:19712                        // 000000009268: D81A4D00 00008232
	ds_write_b32 v50, v131 offset:27904                        // 000000009270: D81A6D00 00008332
	ds_write_b32 v50, v132 offset:20736                        // 000000009278: D81A5100 00008432
	ds_write_b32 v50, v133 offset:28928                        // 000000009280: D81A7100 00008532
	ds_write_b32 v50, v134 offset:21760                        // 000000009288: D81A5500 00008632
	ds_write_b32 v50, v135 offset:29952                        // 000000009290: D81A7500 00008732
	ds_write_b32 v50, v136 offset:22784                        // 000000009298: D81A5900 00008832
	ds_write_b32 v50, v137 offset:30976                        // 0000000092A0: D81A7900 00008932
	ds_write_b32 v50, v138 offset:23808                        // 0000000092A8: D81A5D00 00008A32
	ds_write_b32 v50, v139 offset:32000                        // 0000000092B0: D81A7D00 00008B32
	ds_write_b32 v50, v140 offset:24832                        // 0000000092B8: D81A6100 00008C32
	ds_write_b32 v50, v141 offset:33024                        // 0000000092C0: D81A8100 00008D32
	ds_write_b32 v50, v142 offset:25856                        // 0000000092C8: D81A6500 00008E32
	ds_write_b32 v50, v143 offset:34048                        // 0000000092D0: D81A8500 00008F32
	s_waitcnt lgkmcnt(0)                                       // 0000000092D8: BF8CC07F
	s_barrier                                                  // 0000000092DC: BF8A0000
	v_lshrrev_b32_e32 v50, 4, v0                               // 0000000092E0: 20640084
	v_lshlrev_b32_e32 v51, 6, v50                              // 0000000092E4: 24666486
	v_and_b32_e32 v50, 15, v0                                  // 0000000092E8: 2664008F
	v_lshlrev_b32_e32 v50, 1, v50                              // 0000000092EC: 24646481
	v_add_u32_e32 v51, v50, v51                                // 0000000092F0: 68666732
	v_lshlrev_b32_e32 v50, 2, v51                              // 0000000092F4: 24646682
	ds_read_b64 v[128:129], v50 offset:18688                   // 0000000092F8: D8EC4900 80000032
	ds_read_b64 v[130:131], v50 offset:18816                   // 000000009300: D8EC4980 82000032
	ds_read_b64 v[132:133], v50 offset:19712                   // 000000009308: D8EC4D00 84000032
	ds_read_b64 v[134:135], v50 offset:19840                   // 000000009310: D8EC4D80 86000032
	ds_read_b64 v[136:137], v50 offset:20736                   // 000000009318: D8EC5100 88000032
	ds_read_b64 v[138:139], v50 offset:20864                   // 000000009320: D8EC5180 8A000032
	ds_read_b64 v[140:141], v50 offset:21760                   // 000000009328: D8EC5500 8C000032
	ds_read_b64 v[142:143], v50 offset:21888                   // 000000009330: D8EC5580 8E000032
	ds_read_b64 v[144:145], v50 offset:22784                   // 000000009338: D8EC5900 90000032
	ds_read_b64 v[146:147], v50 offset:22912                   // 000000009340: D8EC5980 92000032
	ds_read_b64 v[148:149], v50 offset:23808                   // 000000009348: D8EC5D00 94000032
	ds_read_b64 v[150:151], v50 offset:23936                   // 000000009350: D8EC5D80 96000032
	ds_read_b64 v[152:153], v50 offset:24832                   // 000000009358: D8EC6100 98000032
	ds_read_b64 v[154:155], v50 offset:24960                   // 000000009360: D8EC6180 9A000032
	ds_read_b64 v[156:157], v50 offset:25856                   // 000000009368: D8EC6500 9C000032
	ds_read_b64 v[158:159], v50 offset:25984                   // 000000009370: D8EC6580 9E000032
	ds_read_b64 v[160:161], v50 offset:26880                   // 000000009378: D8EC6900 A0000032
	ds_read_b64 v[162:163], v50 offset:27008                   // 000000009380: D8EC6980 A2000032
	ds_read_b64 v[164:165], v50 offset:27904                   // 000000009388: D8EC6D00 A4000032
	ds_read_b64 v[166:167], v50 offset:28032                   // 000000009390: D8EC6D80 A6000032
	ds_read_b64 v[168:169], v50 offset:28928                   // 000000009398: D8EC7100 A8000032
	ds_read_b64 v[170:171], v50 offset:29056                   // 0000000093A0: D8EC7180 AA000032
	ds_read_b64 v[172:173], v50 offset:29952                   // 0000000093A8: D8EC7500 AC000032
	ds_read_b64 v[174:175], v50 offset:30080                   // 0000000093B0: D8EC7580 AE000032
	ds_read_b64 v[176:177], v50 offset:30976                   // 0000000093B8: D8EC7900 B0000032
	ds_read_b64 v[178:179], v50 offset:31104                   // 0000000093C0: D8EC7980 B2000032
	ds_read_b64 v[180:181], v50 offset:32000                   // 0000000093C8: D8EC7D00 B4000032
	ds_read_b64 v[182:183], v50 offset:32128                   // 0000000093D0: D8EC7D80 B6000032
	ds_read_b64 v[184:185], v50 offset:33024                   // 0000000093D8: D8EC8100 B8000032
	ds_read_b64 v[186:187], v50 offset:33152                   // 0000000093E0: D8EC8180 BA000032
	ds_read_b64 v[188:189], v50 offset:34048                   // 0000000093E8: D8EC8500 BC000032
	ds_read_b64 v[190:191], v50 offset:34176                   // 0000000093F0: D8EC8580 BE000032
	s_add_u32 s12, s56, s12                                    // 0000000093F8: 800C0C38
	s_addc_u32 s13, 0, s13                                     // 0000000093FC: 820D0D80
	s_add_u32 s16, s79, s16                                    // 000000009400: 8010104F
	s_addc_u32 s17, 0, s17                                     // 000000009404: 82111180
	s_mov_b32 s80, 0                                           // 000000009408: BED00080
	s_waitcnt vmcnt(0) expcnt(0) lgkmcnt(0)                    // 00000000940C: BF8C0000

0000000000009410 <label_1984>:
	s_waitcnt vmcnt(45)                                        // 000000009410: BF8C8F7D
	s_barrier                                                  // 000000009414: BF8A0000
	v_mfma_i32_16x16x32_i8 v[192:195], a[0:1], v[128:129], 0   // 000000009418: D3D700C0 0A030100
	buffer_load_dwordx4 a[128:131], v42, s[12:15], 0 offen     // 000000009420: E05C1000 8083802A
	v_mfma_i32_16x16x32_i8 v[192:195], a[2:3], v[130:131], v[192:195]// 000000009428: D3D700C0 0F030502
	v_mfma_i32_16x16x32_i8 v[196:199], a[0:1], v[160:161], 0   // 000000009430: D3D700C4 0A034100
	v_mfma_i32_16x16x32_i8 v[196:199], a[2:3], v[162:163], v[196:199]// 000000009438: D3D700C4 0F134502
	v_mfma_i32_16x16x32_i8 v[200:203], a[4:5], v[128:129], 0   // 000000009440: D3D700C8 0A030104
	buffer_load_dwordx4 a[132:135], v43, s[12:15], 0 offen     // 000000009448: E05C1000 8083842B
	v_mfma_i32_16x16x32_i8 v[200:203], a[6:7], v[130:131], v[200:203]// 000000009450: D3D700C8 0F230506
	v_mfma_i32_16x16x32_i8 v[204:207], a[4:5], v[160:161], 0   // 000000009458: D3D700CC 0A034104
	v_mfma_i32_16x16x32_i8 v[204:207], a[6:7], v[162:163], v[204:207]// 000000009460: D3D700CC 0F334506
	v_mfma_i32_16x16x32_i8 v[208:211], a[8:9], v[128:129], 0   // 000000009468: D3D700D0 0A030108
	buffer_load_dwordx4 a[136:139], v44, s[12:15], 0 offen     // 000000009470: E05C1000 8083882C
	v_mfma_i32_16x16x32_i8 v[208:211], a[10:11], v[130:131], v[208:211]// 000000009478: D3D700D0 0F43050A
	v_mfma_i32_16x16x32_i8 v[212:215], a[8:9], v[160:161], 0   // 000000009480: D3D700D4 0A034108
	v_mfma_i32_16x16x32_i8 v[212:215], a[10:11], v[162:163], v[212:215]// 000000009488: D3D700D4 0F53450A
	v_mfma_i32_16x16x32_i8 v[216:219], a[12:13], v[128:129], 0 // 000000009490: D3D700D8 0A03010C
	buffer_load_dwordx4 a[140:143], v45, s[12:15], 0 offen     // 000000009498: E05C1000 80838C2D
	s_add_u32 s12, s78, s12                                    // 0000000094A0: 800C0C4E
	s_addc_u32 s13, 0, s13                                     // 0000000094A4: 820D0D80
	v_mfma_i32_16x16x32_i8 v[216:219], a[14:15], v[130:131], v[216:219]// 0000000094A8: D3D700D8 0F63050E
	v_mfma_i32_16x16x32_i8 v[220:223], a[12:13], v[160:161], 0 // 0000000094B0: D3D700DC 0A03410C
	v_mfma_i32_16x16x32_i8 v[220:223], a[14:15], v[162:163], v[220:223]// 0000000094B8: D3D700DC 0F73450E
	s_waitcnt vmcnt(45)                                        // 0000000094C0: BF8C8F7D
	v_mfma_i32_16x16x32_i8 v[192:195], a[16:17], v[132:133], v[192:195]// 0000000094C4: D3D700C0 0F030910
	buffer_load_dwordx4 a[144:147], v42, s[12:15], 0 offen     // 0000000094CC: E05C1000 8083902A
	v_mfma_i32_16x16x32_i8 v[192:195], a[18:19], v[134:135], v[192:195]// 0000000094D4: D3D700C0 0F030D12
	v_mfma_i32_16x16x32_i8 v[196:199], a[16:17], v[164:165], v[196:199]// 0000000094DC: D3D700C4 0F134910
	v_mfma_i32_16x16x32_i8 v[196:199], a[18:19], v[166:167], v[196:199]// 0000000094E4: D3D700C4 0F134D12
	v_mfma_i32_16x16x32_i8 v[200:203], a[20:21], v[132:133], v[200:203]// 0000000094EC: D3D700C8 0F230914
	buffer_load_dwordx4 a[148:151], v43, s[12:15], 0 offen     // 0000000094F4: E05C1000 8083942B
	v_mfma_i32_16x16x32_i8 v[200:203], a[22:23], v[134:135], v[200:203]// 0000000094FC: D3D700C8 0F230D16
	v_mfma_i32_16x16x32_i8 v[204:207], a[20:21], v[164:165], v[204:207]// 000000009504: D3D700CC 0F334914
	v_mfma_i32_16x16x32_i8 v[204:207], a[22:23], v[166:167], v[204:207]// 00000000950C: D3D700CC 0F334D16
	v_mfma_i32_16x16x32_i8 v[208:211], a[24:25], v[132:133], v[208:211]// 000000009514: D3D700D0 0F430918
	buffer_load_dwordx4 a[152:155], v44, s[12:15], 0 offen     // 00000000951C: E05C1000 8083982C
	v_mfma_i32_16x16x32_i8 v[208:211], a[26:27], v[134:135], v[208:211]// 000000009524: D3D700D0 0F430D1A
	v_mfma_i32_16x16x32_i8 v[212:215], a[24:25], v[164:165], v[212:215]// 00000000952C: D3D700D4 0F534918
	v_mfma_i32_16x16x32_i8 v[212:215], a[26:27], v[166:167], v[212:215]// 000000009534: D3D700D4 0F534D1A
	v_mfma_i32_16x16x32_i8 v[216:219], a[28:29], v[132:133], v[216:219]// 00000000953C: D3D700D8 0F63091C
	buffer_load_dwordx4 a[156:159], v45, s[12:15], 0 offen     // 000000009544: E05C1000 80839C2D
	s_add_u32 s12, s78, s12                                    // 00000000954C: 800C0C4E
	s_addc_u32 s13, 0, s13                                     // 000000009550: 820D0D80
	v_mfma_i32_16x16x32_i8 v[216:219], a[30:31], v[134:135], v[216:219]// 000000009554: D3D700D8 0F630D1E
	v_mfma_i32_16x16x32_i8 v[220:223], a[28:29], v[164:165], v[220:223]// 00000000955C: D3D700DC 0F73491C
	v_mfma_i32_16x16x32_i8 v[220:223], a[30:31], v[166:167], v[220:223]// 000000009564: D3D700DC 0F734D1E
	s_waitcnt vmcnt(45)                                        // 00000000956C: BF8C8F7D
	v_mfma_i32_16x16x32_i8 v[192:195], a[32:33], v[136:137], v[192:195]// 000000009570: D3D700C0 0F031120
	buffer_load_dwordx4 a[160:163], v42, s[12:15], 0 offen     // 000000009578: E05C1000 8083A02A
	v_mfma_i32_16x16x32_i8 v[192:195], a[34:35], v[138:139], v[192:195]// 000000009580: D3D700C0 0F031522
	v_mfma_i32_16x16x32_i8 v[196:199], a[32:33], v[168:169], v[196:199]// 000000009588: D3D700C4 0F135120
	v_mfma_i32_16x16x32_i8 v[196:199], a[34:35], v[170:171], v[196:199]// 000000009590: D3D700C4 0F135522
	v_mfma_i32_16x16x32_i8 v[200:203], a[36:37], v[136:137], v[200:203]// 000000009598: D3D700C8 0F231124
	buffer_load_dwordx4 a[164:167], v43, s[12:15], 0 offen     // 0000000095A0: E05C1000 8083A42B
	v_mfma_i32_16x16x32_i8 v[200:203], a[38:39], v[138:139], v[200:203]// 0000000095A8: D3D700C8 0F231526
	v_mfma_i32_16x16x32_i8 v[204:207], a[36:37], v[168:169], v[204:207]// 0000000095B0: D3D700CC 0F335124
	v_mfma_i32_16x16x32_i8 v[204:207], a[38:39], v[170:171], v[204:207]// 0000000095B8: D3D700CC 0F335526
	v_mfma_i32_16x16x32_i8 v[208:211], a[40:41], v[136:137], v[208:211]// 0000000095C0: D3D700D0 0F431128
	buffer_load_dwordx4 a[168:171], v44, s[12:15], 0 offen     // 0000000095C8: E05C1000 8083A82C
	v_mfma_i32_16x16x32_i8 v[208:211], a[42:43], v[138:139], v[208:211]// 0000000095D0: D3D700D0 0F43152A
	v_mfma_i32_16x16x32_i8 v[212:215], a[40:41], v[168:169], v[212:215]// 0000000095D8: D3D700D4 0F535128
	v_mfma_i32_16x16x32_i8 v[212:215], a[42:43], v[170:171], v[212:215]// 0000000095E0: D3D700D4 0F53552A
	v_mfma_i32_16x16x32_i8 v[216:219], a[44:45], v[136:137], v[216:219]// 0000000095E8: D3D700D8 0F63112C
	buffer_load_dwordx4 a[172:175], v45, s[12:15], 0 offen     // 0000000095F0: E05C1000 8083AC2D
	s_add_u32 s12, s78, s12                                    // 0000000095F8: 800C0C4E
	s_addc_u32 s13, 0, s13                                     // 0000000095FC: 820D0D80
	v_mfma_i32_16x16x32_i8 v[216:219], a[46:47], v[138:139], v[216:219]// 000000009600: D3D700D8 0F63152E
	v_mfma_i32_16x16x32_i8 v[220:223], a[44:45], v[168:169], v[220:223]// 000000009608: D3D700DC 0F73512C
	v_mfma_i32_16x16x32_i8 v[220:223], a[46:47], v[170:171], v[220:223]// 000000009610: D3D700DC 0F73552E
	s_waitcnt vmcnt(45)                                        // 000000009618: BF8C8F7D
	v_mfma_i32_16x16x32_i8 v[192:195], a[48:49], v[140:141], v[192:195]// 00000000961C: D3D700C0 0F031930
	buffer_load_dwordx4 a[176:179], v42, s[12:15], 0 offen     // 000000009624: E05C1000 8083B02A
	v_mfma_i32_16x16x32_i8 v[192:195], a[50:51], v[142:143], v[192:195]// 00000000962C: D3D700C0 0F031D32
	v_mfma_i32_16x16x32_i8 v[196:199], a[48:49], v[172:173], v[196:199]// 000000009634: D3D700C4 0F135930
	v_mfma_i32_16x16x32_i8 v[196:199], a[50:51], v[174:175], v[196:199]// 00000000963C: D3D700C4 0F135D32
	v_mfma_i32_16x16x32_i8 v[200:203], a[52:53], v[140:141], v[200:203]// 000000009644: D3D700C8 0F231934
	buffer_load_dwordx4 a[180:183], v43, s[12:15], 0 offen     // 00000000964C: E05C1000 8083B42B
	v_mfma_i32_16x16x32_i8 v[200:203], a[54:55], v[142:143], v[200:203]// 000000009654: D3D700C8 0F231D36
	v_mfma_i32_16x16x32_i8 v[204:207], a[52:53], v[172:173], v[204:207]// 00000000965C: D3D700CC 0F335934
	v_mfma_i32_16x16x32_i8 v[204:207], a[54:55], v[174:175], v[204:207]// 000000009664: D3D700CC 0F335D36
	v_mfma_i32_16x16x32_i8 v[208:211], a[56:57], v[140:141], v[208:211]// 00000000966C: D3D700D0 0F431938
	buffer_load_dwordx4 a[184:187], v44, s[12:15], 0 offen     // 000000009674: E05C1000 8083B82C
	v_mfma_i32_16x16x32_i8 v[208:211], a[58:59], v[142:143], v[208:211]// 00000000967C: D3D700D0 0F431D3A
	v_mfma_i32_16x16x32_i8 v[212:215], a[56:57], v[172:173], v[212:215]// 000000009684: D3D700D4 0F535938
	v_mfma_i32_16x16x32_i8 v[212:215], a[58:59], v[174:175], v[212:215]// 00000000968C: D3D700D4 0F535D3A
	v_mfma_i32_16x16x32_i8 v[216:219], a[60:61], v[140:141], v[216:219]// 000000009694: D3D700D8 0F63193C
	buffer_load_dwordx4 a[188:191], v45, s[12:15], 0 offen     // 00000000969C: E05C1000 8083BC2D
	s_add_u32 s12, s78, s12                                    // 0000000096A4: 800C0C4E
	s_addc_u32 s13, 0, s13                                     // 0000000096A8: 820D0D80
	v_mfma_i32_16x16x32_i8 v[216:219], a[62:63], v[142:143], v[216:219]// 0000000096AC: D3D700D8 0F631D3E
	v_mfma_i32_16x16x32_i8 v[220:223], a[60:61], v[172:173], v[220:223]// 0000000096B4: D3D700DC 0F73593C
	v_mfma_i32_16x16x32_i8 v[220:223], a[62:63], v[174:175], v[220:223]// 0000000096BC: D3D700DC 0F735D3E
	s_waitcnt vmcnt(45)                                        // 0000000096C4: BF8C8F7D
	v_mfma_i32_16x16x32_i8 v[192:195], a[64:65], v[144:145], v[192:195]// 0000000096C8: D3D700C0 0F032140
	buffer_load_dwordx4 a[192:195], v42, s[12:15], 0 offen     // 0000000096D0: E05C1000 8083C02A
	v_mfma_i32_16x16x32_i8 v[192:195], a[66:67], v[146:147], v[192:195]// 0000000096D8: D3D700C0 0F032542
	v_mfma_i32_16x16x32_i8 v[196:199], a[64:65], v[176:177], v[196:199]// 0000000096E0: D3D700C4 0F136140
	v_mfma_i32_16x16x32_i8 v[196:199], a[66:67], v[178:179], v[196:199]// 0000000096E8: D3D700C4 0F136542
	v_mfma_i32_16x16x32_i8 v[200:203], a[68:69], v[144:145], v[200:203]// 0000000096F0: D3D700C8 0F232144
	buffer_load_dwordx4 a[196:199], v43, s[12:15], 0 offen     // 0000000096F8: E05C1000 8083C42B
	v_mfma_i32_16x16x32_i8 v[200:203], a[70:71], v[146:147], v[200:203]// 000000009700: D3D700C8 0F232546
	v_mfma_i32_16x16x32_i8 v[204:207], a[68:69], v[176:177], v[204:207]// 000000009708: D3D700CC 0F336144
	v_mfma_i32_16x16x32_i8 v[204:207], a[70:71], v[178:179], v[204:207]// 000000009710: D3D700CC 0F336546
	v_mfma_i32_16x16x32_i8 v[208:211], a[72:73], v[144:145], v[208:211]// 000000009718: D3D700D0 0F432148
	buffer_load_dwordx4 a[200:203], v44, s[12:15], 0 offen     // 000000009720: E05C1000 8083C82C
	v_mfma_i32_16x16x32_i8 v[208:211], a[74:75], v[146:147], v[208:211]// 000000009728: D3D700D0 0F43254A
	v_mfma_i32_16x16x32_i8 v[212:215], a[72:73], v[176:177], v[212:215]// 000000009730: D3D700D4 0F536148
	v_mfma_i32_16x16x32_i8 v[212:215], a[74:75], v[178:179], v[212:215]// 000000009738: D3D700D4 0F53654A
	v_mfma_i32_16x16x32_i8 v[216:219], a[76:77], v[144:145], v[216:219]// 000000009740: D3D700D8 0F63214C
	buffer_load_dwordx4 a[204:207], v45, s[12:15], 0 offen     // 000000009748: E05C1000 8083CC2D
	s_add_u32 s12, s78, s12                                    // 000000009750: 800C0C4E
	s_addc_u32 s13, 0, s13                                     // 000000009754: 820D0D80
	v_mfma_i32_16x16x32_i8 v[216:219], a[78:79], v[146:147], v[216:219]// 000000009758: D3D700D8 0F63254E
	v_mfma_i32_16x16x32_i8 v[220:223], a[76:77], v[176:177], v[220:223]// 000000009760: D3D700DC 0F73614C
	v_mfma_i32_16x16x32_i8 v[220:223], a[78:79], v[178:179], v[220:223]// 000000009768: D3D700DC 0F73654E
	s_waitcnt vmcnt(45)                                        // 000000009770: BF8C8F7D
	v_mfma_i32_16x16x32_i8 v[192:195], a[80:81], v[148:149], v[192:195]// 000000009774: D3D700C0 0F032950
	buffer_load_dwordx4 a[208:211], v42, s[12:15], 0 offen     // 00000000977C: E05C1000 8083D02A
	v_mfma_i32_16x16x32_i8 v[192:195], a[82:83], v[150:151], v[192:195]// 000000009784: D3D700C0 0F032D52
	v_mfma_i32_16x16x32_i8 v[196:199], a[80:81], v[180:181], v[196:199]// 00000000978C: D3D700C4 0F136950
	v_mfma_i32_16x16x32_i8 v[196:199], a[82:83], v[182:183], v[196:199]// 000000009794: D3D700C4 0F136D52
	v_mfma_i32_16x16x32_i8 v[200:203], a[84:85], v[148:149], v[200:203]// 00000000979C: D3D700C8 0F232954
	buffer_load_dwordx4 a[212:215], v43, s[12:15], 0 offen     // 0000000097A4: E05C1000 8083D42B
	v_mfma_i32_16x16x32_i8 v[200:203], a[86:87], v[150:151], v[200:203]// 0000000097AC: D3D700C8 0F232D56
	v_mfma_i32_16x16x32_i8 v[204:207], a[84:85], v[180:181], v[204:207]// 0000000097B4: D3D700CC 0F336954
	v_mfma_i32_16x16x32_i8 v[204:207], a[86:87], v[182:183], v[204:207]// 0000000097BC: D3D700CC 0F336D56
	v_mfma_i32_16x16x32_i8 v[208:211], a[88:89], v[148:149], v[208:211]// 0000000097C4: D3D700D0 0F432958
	buffer_load_dwordx4 a[216:219], v44, s[12:15], 0 offen     // 0000000097CC: E05C1000 8083D82C
	v_mfma_i32_16x16x32_i8 v[208:211], a[90:91], v[150:151], v[208:211]// 0000000097D4: D3D700D0 0F432D5A
	v_mfma_i32_16x16x32_i8 v[212:215], a[88:89], v[180:181], v[212:215]// 0000000097DC: D3D700D4 0F536958
	v_mfma_i32_16x16x32_i8 v[212:215], a[90:91], v[182:183], v[212:215]// 0000000097E4: D3D700D4 0F536D5A
	v_mfma_i32_16x16x32_i8 v[216:219], a[92:93], v[148:149], v[216:219]// 0000000097EC: D3D700D8 0F63295C
	buffer_load_dwordx4 a[220:223], v45, s[12:15], 0 offen     // 0000000097F4: E05C1000 8083DC2D
	s_add_u32 s12, s78, s12                                    // 0000000097FC: 800C0C4E
	s_addc_u32 s13, 0, s13                                     // 000000009800: 820D0D80
	v_mfma_i32_16x16x32_i8 v[216:219], a[94:95], v[150:151], v[216:219]// 000000009804: D3D700D8 0F632D5E
	v_mfma_i32_16x16x32_i8 v[220:223], a[92:93], v[180:181], v[220:223]// 00000000980C: D3D700DC 0F73695C
	v_mfma_i32_16x16x32_i8 v[220:223], a[94:95], v[182:183], v[220:223]// 000000009814: D3D700DC 0F736D5E
	s_waitcnt vmcnt(45)                                        // 00000000981C: BF8C8F7D
	v_mfma_i32_16x16x32_i8 v[192:195], a[96:97], v[152:153], v[192:195]// 000000009820: D3D700C0 0F033160
	buffer_load_dwordx4 a[224:227], v42, s[12:15], 0 offen     // 000000009828: E05C1000 8083E02A
	v_mfma_i32_16x16x32_i8 v[192:195], a[98:99], v[154:155], v[192:195]// 000000009830: D3D700C0 0F033562
	v_mfma_i32_16x16x32_i8 v[196:199], a[96:97], v[184:185], v[196:199]// 000000009838: D3D700C4 0F137160
	v_mfma_i32_16x16x32_i8 v[196:199], a[98:99], v[186:187], v[196:199]// 000000009840: D3D700C4 0F137562
	v_mfma_i32_16x16x32_i8 v[200:203], a[100:101], v[152:153], v[200:203]// 000000009848: D3D700C8 0F233164
	buffer_load_dwordx4 a[228:231], v43, s[12:15], 0 offen     // 000000009850: E05C1000 8083E42B
	v_mfma_i32_16x16x32_i8 v[200:203], a[102:103], v[154:155], v[200:203]// 000000009858: D3D700C8 0F233566
	v_mfma_i32_16x16x32_i8 v[204:207], a[100:101], v[184:185], v[204:207]// 000000009860: D3D700CC 0F337164
	v_mfma_i32_16x16x32_i8 v[204:207], a[102:103], v[186:187], v[204:207]// 000000009868: D3D700CC 0F337566
	v_mfma_i32_16x16x32_i8 v[208:211], a[104:105], v[152:153], v[208:211]// 000000009870: D3D700D0 0F433168
	buffer_load_dwordx4 a[232:235], v44, s[12:15], 0 offen     // 000000009878: E05C1000 8083E82C
	v_mfma_i32_16x16x32_i8 v[208:211], a[106:107], v[154:155], v[208:211]// 000000009880: D3D700D0 0F43356A
	v_mfma_i32_16x16x32_i8 v[212:215], a[104:105], v[184:185], v[212:215]// 000000009888: D3D700D4 0F537168
	v_mfma_i32_16x16x32_i8 v[212:215], a[106:107], v[186:187], v[212:215]// 000000009890: D3D700D4 0F53756A
	v_mfma_i32_16x16x32_i8 v[216:219], a[108:109], v[152:153], v[216:219]// 000000009898: D3D700D8 0F63316C
	buffer_load_dwordx4 a[236:239], v45, s[12:15], 0 offen     // 0000000098A0: E05C1000 8083EC2D
	s_add_u32 s12, s78, s12                                    // 0000000098A8: 800C0C4E
	s_addc_u32 s13, 0, s13                                     // 0000000098AC: 820D0D80
	v_mfma_i32_16x16x32_i8 v[216:219], a[110:111], v[154:155], v[216:219]// 0000000098B0: D3D700D8 0F63356E
	v_mfma_i32_16x16x32_i8 v[220:223], a[108:109], v[184:185], v[220:223]// 0000000098B8: D3D700DC 0F73716C
	v_mfma_i32_16x16x32_i8 v[220:223], a[110:111], v[186:187], v[220:223]// 0000000098C0: D3D700DC 0F73756E
	s_waitcnt vmcnt(44)                                        // 0000000098C8: BF8C8F7C
	v_mfma_i32_16x16x32_i8 v[192:195], a[112:113], v[156:157], v[192:195]// 0000000098CC: D3D700C0 0F033970
	buffer_load_dwordx4 a[240:243], v42, s[12:15], 0 offen     // 0000000098D4: E05C1000 8083F02A
	v_mfma_i32_16x16x32_i8 v[192:195], a[114:115], v[158:159], v[192:195]// 0000000098DC: D3D700C0 0F033D72
	v_mfma_i32_16x16x32_i8 v[196:199], a[112:113], v[188:189], v[196:199]// 0000000098E4: D3D700C4 0F137970
	buffer_load_dword v13, v5, s[16:19], 0 offen               // 0000000098EC: E0501000 80040D05
	v_mfma_i32_16x16x32_i8 v[196:199], a[114:115], v[190:191], v[196:199]// 0000000098F4: D3D700C4 0F137D72
	v_mfma_i32_16x16x32_i8 v[200:203], a[116:117], v[156:157], v[200:203]// 0000000098FC: D3D700C8 0F233974
	buffer_load_dwordx4 a[244:247], v43, s[12:15], 0 offen     // 000000009904: E05C1000 8083F42B
	v_mfma_i32_16x16x32_i8 v[200:203], a[118:119], v[158:159], v[200:203]// 00000000990C: D3D700C8 0F233D76
	v_mfma_i32_16x16x32_i8 v[204:207], a[116:117], v[188:189], v[204:207]// 000000009914: D3D700CC 0F337974
	v_mfma_i32_16x16x32_i8 v[204:207], a[118:119], v[190:191], v[204:207]// 00000000991C: D3D700CC 0F337D76
	v_mfma_i32_16x16x32_i8 v[208:211], a[120:121], v[156:157], v[208:211]// 000000009924: D3D700D0 0F433978
	buffer_load_dwordx4 a[248:251], v44, s[12:15], 0 offen     // 00000000992C: E05C1000 8083F82C
	v_mfma_i32_16x16x32_i8 v[208:211], a[122:123], v[158:159], v[208:211]// 000000009934: D3D700D0 0F433D7A
	v_mfma_i32_16x16x32_i8 v[212:215], a[120:121], v[188:189], v[212:215]// 00000000993C: D3D700D4 0F537978
	v_mfma_i32_16x16x32_i8 v[212:215], a[122:123], v[190:191], v[212:215]// 000000009944: D3D700D4 0F537D7A
	v_mfma_i32_16x16x32_i8 v[216:219], a[124:125], v[156:157], v[216:219]// 00000000994C: D3D700D8 0F63397C
	buffer_load_dwordx4 a[252:255], v45, s[12:15], 0 offen     // 000000009954: E05C1000 8083FC2D
	v_mfma_i32_16x16x32_i8 v[216:219], a[126:127], v[158:159], v[216:219]// 00000000995C: D3D700D8 0F633D7E
	v_mfma_i32_16x16x32_i8 v[220:223], a[124:125], v[188:189], v[220:223]// 000000009964: D3D700DC 0F73797C
	v_mfma_i32_16x16x32_i8 v[220:223], a[126:127], v[190:191], v[220:223]// 00000000996C: D3D700DC 0F737D7E
	s_add_u32 s60, 0x200, s80                                  // 000000009974: 803C50FF 00000200
	s_cmp_lt_u32 s60, s81                                      // 00000000997C: BF0A513C
	s_cselect_b32 s56, s56, 0                                  // 000000009980: 85388038
	s_cselect_b32 s78, s78, 0                                  // 000000009984: 854E804E
	s_cselect_b32 s79, s79, 0                                  // 000000009988: 854F804F
	s_add_u32 s12, s56, s12                                    // 00000000998C: 800C0C38
	s_addc_u32 s13, 0, s13                                     // 000000009990: 820D0D80
	s_add_u32 s16, s79, s16                                    // 000000009994: 8010104F
	s_addc_u32 s17, 0, s17                                     // 000000009998: 82111180
	v_cvt_f32_i32_e32 v192, v192                               // 00000000999C: 7F800BC0
	v_cvt_f32_i32_e32 v193, v193                               // 0000000099A0: 7F820BC1
	v_cvt_f32_i32_e32 v194, v194                               // 0000000099A4: 7F840BC2
	v_cvt_f32_i32_e32 v195, v195                               // 0000000099A8: 7F860BC3
	v_mul_f32_e32 v192, v24, v192                              // 0000000099AC: 0B818118
	v_mul_f32_e32 v193, v24, v193                              // 0000000099B0: 0B838318
	v_mul_f32_e32 v194, v24, v194                              // 0000000099B4: 0B858518
	v_mul_f32_e32 v195, v24, v195                              // 0000000099B8: 0B878718
	v_mul_f32_dpp v192, v12, v192 row_newbcast:0 row_mask:0xf bank_mask:0xf// 0000000099BC: 0B8180FA FF01500C
	v_mul_f32_dpp v193, v12, v193 row_newbcast:1 row_mask:0xf bank_mask:0xf// 0000000099C4: 0B8382FA FF01510C
	v_mul_f32_dpp v194, v12, v194 row_newbcast:2 row_mask:0xf bank_mask:0xf// 0000000099CC: 0B8584FA FF01520C
	v_mul_f32_dpp v195, v12, v195 row_newbcast:3 row_mask:0xf bank_mask:0xf// 0000000099D4: 0B8786FA FF01530C
	v_mul_f32_e32 v192, v20, v192                              // 0000000099DC: 0B818114
	v_mul_f32_e32 v193, v20, v193                              // 0000000099E0: 0B838314
	v_mul_f32_e32 v194, v20, v194                              // 0000000099E4: 0B858514
	v_mul_f32_e32 v195, v20, v195                              // 0000000099E8: 0B878714
	v_cvt_f32_i32_e32 v196, v196                               // 0000000099EC: 7F880BC4
	v_cvt_f32_i32_e32 v197, v197                               // 0000000099F0: 7F8A0BC5
	v_cvt_f32_i32_e32 v198, v198                               // 0000000099F4: 7F8C0BC6
	v_cvt_f32_i32_e32 v199, v199                               // 0000000099F8: 7F8E0BC7
	v_mul_f32_e32 v196, v25, v196                              // 0000000099FC: 0B898919
	v_mul_f32_e32 v197, v25, v197                              // 000000009A00: 0B8B8B19
	v_mul_f32_e32 v198, v25, v198                              // 000000009A04: 0B8D8D19
	v_mul_f32_e32 v199, v25, v199                              // 000000009A08: 0B8F8F19
	v_mul_f32_dpp v196, v12, v196 row_newbcast:0 row_mask:0xf bank_mask:0xf// 000000009A0C: 0B8988FA FF01500C
	v_mul_f32_dpp v197, v12, v197 row_newbcast:1 row_mask:0xf bank_mask:0xf// 000000009A14: 0B8B8AFA FF01510C
	v_mul_f32_dpp v198, v12, v198 row_newbcast:2 row_mask:0xf bank_mask:0xf// 000000009A1C: 0B8D8CFA FF01520C
	v_mul_f32_dpp v199, v12, v199 row_newbcast:3 row_mask:0xf bank_mask:0xf// 000000009A24: 0B8F8EFA FF01530C
	v_mul_f32_e32 v196, v21, v196                              // 000000009A2C: 0B898915
	v_mul_f32_e32 v197, v21, v197                              // 000000009A30: 0B8B8B15
	v_mul_f32_e32 v198, v21, v198                              // 000000009A34: 0B8D8D15
	v_mul_f32_e32 v199, v21, v199                              // 000000009A38: 0B8F8F15
	v_cvt_f32_i32_e32 v200, v200                               // 000000009A3C: 7F900BC8
	v_cvt_f32_i32_e32 v201, v201                               // 000000009A40: 7F920BC9
	v_cvt_f32_i32_e32 v202, v202                               // 000000009A44: 7F940BCA
	v_cvt_f32_i32_e32 v203, v203                               // 000000009A48: 7F960BCB
	v_mul_f32_e32 v200, v24, v200                              // 000000009A4C: 0B919118
	v_mul_f32_e32 v201, v24, v201                              // 000000009A50: 0B939318
	v_mul_f32_e32 v202, v24, v202                              // 000000009A54: 0B959518
	v_mul_f32_e32 v203, v24, v203                              // 000000009A58: 0B979718
	v_mul_f32_dpp v200, v12, v200 row_newbcast:4 row_mask:0xf bank_mask:0xf// 000000009A5C: 0B9190FA FF01540C
	v_mul_f32_dpp v201, v12, v201 row_newbcast:5 row_mask:0xf bank_mask:0xf// 000000009A64: 0B9392FA FF01550C
	v_mul_f32_dpp v202, v12, v202 row_newbcast:6 row_mask:0xf bank_mask:0xf// 000000009A6C: 0B9594FA FF01560C
	v_mul_f32_dpp v203, v12, v203 row_newbcast:7 row_mask:0xf bank_mask:0xf// 000000009A74: 0B9796FA FF01570C
	v_mul_f32_e32 v200, v20, v200                              // 000000009A7C: 0B919114
	v_mul_f32_e32 v201, v20, v201                              // 000000009A80: 0B939314
	v_mul_f32_e32 v202, v20, v202                              // 000000009A84: 0B959514
	v_mul_f32_e32 v203, v20, v203                              // 000000009A88: 0B979714
	v_cvt_f32_i32_e32 v204, v204                               // 000000009A8C: 7F980BCC
	v_cvt_f32_i32_e32 v205, v205                               // 000000009A90: 7F9A0BCD
	v_cvt_f32_i32_e32 v206, v206                               // 000000009A94: 7F9C0BCE
	v_cvt_f32_i32_e32 v207, v207                               // 000000009A98: 7F9E0BCF
	v_mul_f32_e32 v204, v25, v204                              // 000000009A9C: 0B999919
	v_mul_f32_e32 v205, v25, v205                              // 000000009AA0: 0B9B9B19
	v_mul_f32_e32 v206, v25, v206                              // 000000009AA4: 0B9D9D19
	v_mul_f32_e32 v207, v25, v207                              // 000000009AA8: 0B9F9F19
	v_mul_f32_dpp v204, v12, v204 row_newbcast:4 row_mask:0xf bank_mask:0xf// 000000009AAC: 0B9998FA FF01540C
	v_mul_f32_dpp v205, v12, v205 row_newbcast:5 row_mask:0xf bank_mask:0xf// 000000009AB4: 0B9B9AFA FF01550C
	v_mul_f32_dpp v206, v12, v206 row_newbcast:6 row_mask:0xf bank_mask:0xf// 000000009ABC: 0B9D9CFA FF01560C
	v_mul_f32_dpp v207, v12, v207 row_newbcast:7 row_mask:0xf bank_mask:0xf// 000000009AC4: 0B9F9EFA FF01570C
	v_mul_f32_e32 v204, v21, v204                              // 000000009ACC: 0B999915
	v_mul_f32_e32 v205, v21, v205                              // 000000009AD0: 0B9B9B15
	v_mul_f32_e32 v206, v21, v206                              // 000000009AD4: 0B9D9D15
	v_mul_f32_e32 v207, v21, v207                              // 000000009AD8: 0B9F9F15
	v_cvt_f32_i32_e32 v208, v208                               // 000000009ADC: 7FA00BD0
	v_cvt_f32_i32_e32 v209, v209                               // 000000009AE0: 7FA20BD1
	v_cvt_f32_i32_e32 v210, v210                               // 000000009AE4: 7FA40BD2
	v_cvt_f32_i32_e32 v211, v211                               // 000000009AE8: 7FA60BD3
	v_mul_f32_e32 v208, v24, v208                              // 000000009AEC: 0BA1A118
	v_mul_f32_e32 v209, v24, v209                              // 000000009AF0: 0BA3A318
	v_mul_f32_e32 v210, v24, v210                              // 000000009AF4: 0BA5A518
	v_mul_f32_e32 v211, v24, v211                              // 000000009AF8: 0BA7A718
	v_mul_f32_dpp v208, v12, v208 row_newbcast:8 row_mask:0xf bank_mask:0xf// 000000009AFC: 0BA1A0FA FF01580C
	v_mul_f32_dpp v209, v12, v209 row_newbcast:9 row_mask:0xf bank_mask:0xf// 000000009B04: 0BA3A2FA FF01590C
	v_mul_f32_dpp v210, v12, v210 row_newbcast:10 row_mask:0xf bank_mask:0xf// 000000009B0C: 0BA5A4FA FF015A0C
	v_mul_f32_dpp v211, v12, v211 row_newbcast:11 row_mask:0xf bank_mask:0xf// 000000009B14: 0BA7A6FA FF015B0C
	v_mul_f32_e32 v208, v20, v208                              // 000000009B1C: 0BA1A114
	v_mul_f32_e32 v209, v20, v209                              // 000000009B20: 0BA3A314
	v_mul_f32_e32 v210, v20, v210                              // 000000009B24: 0BA5A514
	v_mul_f32_e32 v211, v20, v211                              // 000000009B28: 0BA7A714
	v_cvt_f32_i32_e32 v212, v212                               // 000000009B2C: 7FA80BD4
	v_cvt_f32_i32_e32 v213, v213                               // 000000009B30: 7FAA0BD5
	v_cvt_f32_i32_e32 v214, v214                               // 000000009B34: 7FAC0BD6
	v_cvt_f32_i32_e32 v215, v215                               // 000000009B38: 7FAE0BD7
	v_mul_f32_e32 v212, v25, v212                              // 000000009B3C: 0BA9A919
	v_mul_f32_e32 v213, v25, v213                              // 000000009B40: 0BABAB19
	v_mul_f32_e32 v214, v25, v214                              // 000000009B44: 0BADAD19
	v_mul_f32_e32 v215, v25, v215                              // 000000009B48: 0BAFAF19
	v_mul_f32_dpp v212, v12, v212 row_newbcast:8 row_mask:0xf bank_mask:0xf// 000000009B4C: 0BA9A8FA FF01580C
	v_mul_f32_dpp v213, v12, v213 row_newbcast:9 row_mask:0xf bank_mask:0xf// 000000009B54: 0BABAAFA FF01590C
	v_mul_f32_dpp v214, v12, v214 row_newbcast:10 row_mask:0xf bank_mask:0xf// 000000009B5C: 0BADACFA FF015A0C
	v_mul_f32_dpp v215, v12, v215 row_newbcast:11 row_mask:0xf bank_mask:0xf// 000000009B64: 0BAFAEFA FF015B0C
	v_mul_f32_e32 v212, v21, v212                              // 000000009B6C: 0BA9A915
	v_mul_f32_e32 v213, v21, v213                              // 000000009B70: 0BABAB15
	v_mul_f32_e32 v214, v21, v214                              // 000000009B74: 0BADAD15
	v_mul_f32_e32 v215, v21, v215                              // 000000009B78: 0BAFAF15
	v_cvt_f32_i32_e32 v216, v216                               // 000000009B7C: 7FB00BD8
	v_cvt_f32_i32_e32 v217, v217                               // 000000009B80: 7FB20BD9
	v_cvt_f32_i32_e32 v218, v218                               // 000000009B84: 7FB40BDA
	v_cvt_f32_i32_e32 v219, v219                               // 000000009B88: 7FB60BDB
	v_mul_f32_e32 v216, v24, v216                              // 000000009B8C: 0BB1B118
	v_mul_f32_e32 v217, v24, v217                              // 000000009B90: 0BB3B318
	v_mul_f32_e32 v218, v24, v218                              // 000000009B94: 0BB5B518
	v_mul_f32_e32 v219, v24, v219                              // 000000009B98: 0BB7B718
	v_mul_f32_dpp v216, v12, v216 row_newbcast:12 row_mask:0xf bank_mask:0xf// 000000009B9C: 0BB1B0FA FF015C0C
	v_mul_f32_dpp v217, v12, v217 row_newbcast:13 row_mask:0xf bank_mask:0xf// 000000009BA4: 0BB3B2FA FF015D0C
	v_mul_f32_dpp v218, v12, v218 row_newbcast:14 row_mask:0xf bank_mask:0xf// 000000009BAC: 0BB5B4FA FF015E0C
	v_mul_f32_dpp v219, v12, v219 row_newbcast:15 row_mask:0xf bank_mask:0xf// 000000009BB4: 0BB7B6FA FF015F0C
	v_mul_f32_e32 v216, v20, v216                              // 000000009BBC: 0BB1B114
	v_mul_f32_e32 v217, v20, v217                              // 000000009BC0: 0BB3B314
	v_mul_f32_e32 v218, v20, v218                              // 000000009BC4: 0BB5B514
	v_mul_f32_e32 v219, v20, v219                              // 000000009BC8: 0BB7B714
	v_cvt_f32_i32_e32 v220, v220                               // 000000009BCC: 7FB80BDC
	v_cvt_f32_i32_e32 v221, v221                               // 000000009BD0: 7FBA0BDD
	v_cvt_f32_i32_e32 v222, v222                               // 000000009BD4: 7FBC0BDE
	v_cvt_f32_i32_e32 v223, v223                               // 000000009BD8: 7FBE0BDF
	v_mul_f32_e32 v220, v25, v220                              // 000000009BDC: 0BB9B919
	v_mul_f32_e32 v221, v25, v221                              // 000000009BE0: 0BBBBB19
	v_mul_f32_e32 v222, v25, v222                              // 000000009BE4: 0BBDBD19
	v_mul_f32_e32 v223, v25, v223                              // 000000009BE8: 0BBFBF19
	v_mul_f32_dpp v220, v12, v220 row_newbcast:12 row_mask:0xf bank_mask:0xf// 000000009BEC: 0BB9B8FA FF015C0C
	v_mul_f32_dpp v221, v12, v221 row_newbcast:13 row_mask:0xf bank_mask:0xf// 000000009BF4: 0BBBBAFA FF015D0C
	v_mul_f32_dpp v222, v12, v222 row_newbcast:14 row_mask:0xf bank_mask:0xf// 000000009BFC: 0BBDBCFA FF015E0C
	v_mul_f32_dpp v223, v12, v223 row_newbcast:15 row_mask:0xf bank_mask:0xf// 000000009C04: 0BBFBEFA FF015F0C
	v_mul_f32_e32 v220, v21, v220                              // 000000009C0C: 0BB9B915
	v_mul_f32_e32 v221, v21, v221                              // 000000009C10: 0BBBBB15
	v_mul_f32_e32 v222, v21, v222                              // 000000009C14: 0BBDBD15
	v_mul_f32_e32 v223, v21, v223                              // 000000009C18: 0BBFBF15
	v_cvt_pkrtz_f16_f32 v192, v192, v193                       // 000000009C1C: D29600C0 000383C0
	v_cvt_pkrtz_f16_f32 v193, v194, v195                       // 000000009C24: D29600C1 000387C2
	v_cvt_pkrtz_f16_f32 v194, v196, v197                       // 000000009C2C: D29600C2 00038BC4
	v_cvt_pkrtz_f16_f32 v195, v198, v199                       // 000000009C34: D29600C3 00038FC6
	v_cvt_pkrtz_f16_f32 v196, v200, v201                       // 000000009C3C: D29600C4 000393C8
	v_cvt_pkrtz_f16_f32 v197, v202, v203                       // 000000009C44: D29600C5 000397CA
	v_cvt_pkrtz_f16_f32 v198, v204, v205                       // 000000009C4C: D29600C6 00039BCC
	v_cvt_pkrtz_f16_f32 v199, v206, v207                       // 000000009C54: D29600C7 00039FCE
	v_cvt_pkrtz_f16_f32 v200, v208, v209                       // 000000009C5C: D29600C8 0003A3D0
	v_cvt_pkrtz_f16_f32 v201, v210, v211                       // 000000009C64: D29600C9 0003A7D2
	v_cvt_pkrtz_f16_f32 v202, v212, v213                       // 000000009C6C: D29600CA 0003ABD4
	v_cvt_pkrtz_f16_f32 v203, v214, v215                       // 000000009C74: D29600CB 0003AFD6
	v_cvt_pkrtz_f16_f32 v204, v216, v217                       // 000000009C7C: D29600CC 0003B3D8
	v_cvt_pkrtz_f16_f32 v205, v218, v219                       // 000000009C84: D29600CD 0003B7DA
	v_cvt_pkrtz_f16_f32 v206, v220, v221                       // 000000009C8C: D29600CE 0003BBDC
	v_cvt_pkrtz_f16_f32 v207, v222, v223                       // 000000009C94: D29600CF 0003BFDE
	ds_write_b64 v3, v[192:193] offset:35072                   // 000000009C9C: D89A8900 0000C003
	ds_write_b64 v3, v[194:195] offset:43776                   // 000000009CA4: D89AAB00 0000C203
	ds_write_b64 v3, v[196:197] offset:37248                   // 000000009CAC: D89A9180 0000C403
	ds_write_b64 v3, v[198:199] offset:45952                   // 000000009CB4: D89AB380 0000C603
	ds_write_b64 v3, v[200:201] offset:39424                   // 000000009CBC: D89A9A00 0000C803
	ds_write_b64 v3, v[202:203] offset:48128                   // 000000009CC4: D89ABC00 0000CA03
	ds_write_b64 v3, v[204:205] offset:41600                   // 000000009CCC: D89AA280 0000CC03
	ds_write_b64 v3, v[206:207] offset:50304                   // 000000009CD4: D89AC480 0000CE03
	s_waitcnt lgkmcnt(0)                                       // 000000009CDC: BF8CC07F
	s_barrier                                                  // 000000009CE0: BF8A0000
	ds_read_b32 v64, v4 offset:35072                           // 000000009CE4: D86C8900 40000004
	ds_read_b32 v65, v4 offset:39424                           // 000000009CEC: D86C9A00 41000004
	ds_read_b32 v66, v4 offset:35104                           // 000000009CF4: D86C8920 42000004
	ds_read_b32 v67, v4 offset:39456                           // 000000009CFC: D86C9A20 43000004
	ds_read_b32 v68, v4 offset:35136                           // 000000009D04: D86C8940 44000004
	ds_read_b32 v69, v4 offset:39488                           // 000000009D0C: D86C9A40 45000004
	ds_read_b32 v70, v4 offset:35168                           // 000000009D14: D86C8960 46000004
	ds_read_b32 v71, v4 offset:39520                           // 000000009D1C: D86C9A60 47000004
	ds_read_b32 v72, v4 offset:43776                           // 000000009D24: D86CAB00 48000004
	ds_read_b32 v73, v4 offset:48128                           // 000000009D2C: D86CBC00 49000004
	ds_read_b32 v74, v4 offset:43808                           // 000000009D34: D86CAB20 4A000004
	ds_read_b32 v75, v4 offset:48160                           // 000000009D3C: D86CBC20 4B000004
	ds_read_b32 v76, v4 offset:43840                           // 000000009D44: D86CAB40 4C000004
	ds_read_b32 v77, v4 offset:48192                           // 000000009D4C: D86CBC40 4D000004
	ds_read_b32 v78, v4 offset:43872                           // 000000009D54: D86CAB60 4E000004
	ds_read_b32 v79, v4 offset:48224                           // 000000009D5C: D86CBC60 4F000004
	s_waitcnt lgkmcnt(0)                                       // 000000009D64: BF8CC07F
	s_mov_b64 exec, s[20:21]                                   // 000000009D68: BEFE0114
	global_atomic_pk_add_f16 v80, v64, s[8:9]                  // 000000009D6C: DD388000 00084050
	s_mov_b64 exec, s[36:37]                                   // 000000009D74: BEFE0124
	s_mov_b64 exec, s[20:21]                                   // 000000009D78: BEFE0114
	global_atomic_pk_add_f16 v80, v65, s[8:9] offset:256       // 000000009D7C: DD388100 00084150
	s_mov_b64 exec, s[36:37]                                   // 000000009D84: BEFE0124
	s_mov_b64 exec, s[22:23]                                   // 000000009D88: BEFE0116
	global_atomic_pk_add_f16 v82, v66, s[8:9]                  // 000000009D8C: DD388000 00084252
	s_mov_b64 exec, s[36:37]                                   // 000000009D94: BEFE0124
	s_mov_b64 exec, s[22:23]                                   // 000000009D98: BEFE0116
	global_atomic_pk_add_f16 v82, v67, s[8:9] offset:256       // 000000009D9C: DD388100 00084352
	s_mov_b64 exec, s[36:37]                                   // 000000009DA4: BEFE0124
	s_mov_b64 exec, s[24:25]                                   // 000000009DA8: BEFE0118
	global_atomic_pk_add_f16 v84, v68, s[8:9]                  // 000000009DAC: DD388000 00084454
	s_mov_b64 exec, s[36:37]                                   // 000000009DB4: BEFE0124
	s_mov_b64 exec, s[24:25]                                   // 000000009DB8: BEFE0118
	global_atomic_pk_add_f16 v84, v69, s[8:9] offset:256       // 000000009DBC: DD388100 00084554
	s_mov_b64 exec, s[36:37]                                   // 000000009DC4: BEFE0124
	s_mov_b64 exec, s[26:27]                                   // 000000009DC8: BEFE011A
	global_atomic_pk_add_f16 v86, v70, s[8:9]                  // 000000009DCC: DD388000 00084656
	s_mov_b64 exec, s[36:37]                                   // 000000009DD4: BEFE0124
	s_mov_b64 exec, s[26:27]                                   // 000000009DD8: BEFE011A
	global_atomic_pk_add_f16 v86, v71, s[8:9] offset:256       // 000000009DDC: DD388100 00084756
	s_mov_b64 exec, s[36:37]                                   // 000000009DE4: BEFE0124
	s_mov_b64 exec, s[28:29]                                   // 000000009DE8: BEFE011C
	global_atomic_pk_add_f16 v88, v72, s[8:9]                  // 000000009DEC: DD388000 00084858
	s_mov_b64 exec, s[36:37]                                   // 000000009DF4: BEFE0124
	s_mov_b64 exec, s[28:29]                                   // 000000009DF8: BEFE011C
	global_atomic_pk_add_f16 v88, v73, s[8:9] offset:256       // 000000009DFC: DD388100 00084958
	s_mov_b64 exec, s[36:37]                                   // 000000009E04: BEFE0124
	s_mov_b64 exec, s[30:31]                                   // 000000009E08: BEFE011E
	global_atomic_pk_add_f16 v90, v74, s[8:9]                  // 000000009E0C: DD388000 00084A5A
	s_mov_b64 exec, s[36:37]                                   // 000000009E14: BEFE0124
	s_mov_b64 exec, s[30:31]                                   // 000000009E18: BEFE011E
	global_atomic_pk_add_f16 v90, v75, s[8:9] offset:256       // 000000009E1C: DD388100 00084B5A
	s_mov_b64 exec, s[36:37]                                   // 000000009E24: BEFE0124
	s_mov_b64 exec, s[32:33]                                   // 000000009E28: BEFE0120
	global_atomic_pk_add_f16 v92, v76, s[8:9]                  // 000000009E2C: DD388000 00084C5C
	s_mov_b64 exec, s[36:37]                                   // 000000009E34: BEFE0124
	s_mov_b64 exec, s[32:33]                                   // 000000009E38: BEFE0120
	global_atomic_pk_add_f16 v92, v77, s[8:9] offset:256       // 000000009E3C: DD388100 00084D5C
	s_mov_b64 exec, s[36:37]                                   // 000000009E44: BEFE0124
	s_mov_b64 exec, s[34:35]                                   // 000000009E48: BEFE0122
	global_atomic_pk_add_f16 v94, v78, s[8:9]                  // 000000009E4C: DD388000 00084E5E
	s_mov_b64 exec, s[36:37]                                   // 000000009E54: BEFE0124
	s_mov_b64 exec, s[34:35]                                   // 000000009E58: BEFE0122
	global_atomic_pk_add_f16 v94, v79, s[8:9] offset:256       // 000000009E5C: DD388100 00084F5E
	s_mov_b64 exec, s[36:37]                                   // 000000009E64: BEFE0124
	s_add_u32 s8, s59, s8                                      // 000000009E68: 8008083B
	s_addc_u32 s9, 0, s9                                       // 000000009E6C: 82090980
	s_addk_i32 s80, 0x100                                      // 000000009E70: B7500100
	s_cmp_lt_i32 s80, s81                                      // 000000009E74: BF045150
	s_cbranch_scc0 label_10D7                                  // 000000009E78: BF84F4B8
	s_waitcnt vmcnt(45)                                        // 000000009E7C: BF8C8F7D
	s_barrier                                                  // 000000009E80: BF8A0000
	v_mfma_i32_16x16x32_i8 v[224:227], a[128:129], v[128:129], 0// 000000009E84: D3D700E0 0A030180
	buffer_load_dwordx4 a[0:3], v42, s[12:15], 0 offen         // 000000009E8C: E05C1000 8083002A
	v_mfma_i32_16x16x32_i8 v[224:227], a[130:131], v[130:131], v[224:227]// 000000009E94: D3D700E0 0F830582
	v_mfma_i32_16x16x32_i8 v[228:231], a[128:129], v[160:161], 0// 000000009E9C: D3D700E4 0A034180
	v_mfma_i32_16x16x32_i8 v[228:231], a[130:131], v[162:163], v[228:231]// 000000009EA4: D3D700E4 0F934582
	v_mfma_i32_16x16x32_i8 v[232:235], a[132:133], v[128:129], 0// 000000009EAC: D3D700E8 0A030184
	buffer_load_dwordx4 a[4:7], v43, s[12:15], 0 offen         // 000000009EB4: E05C1000 8083042B
	v_mfma_i32_16x16x32_i8 v[232:235], a[134:135], v[130:131], v[232:235]// 000000009EBC: D3D700E8 0FA30586
	v_mfma_i32_16x16x32_i8 v[236:239], a[132:133], v[160:161], 0// 000000009EC4: D3D700EC 0A034184
	v_mfma_i32_16x16x32_i8 v[236:239], a[134:135], v[162:163], v[236:239]// 000000009ECC: D3D700EC 0FB34586
	v_mfma_i32_16x16x32_i8 v[240:243], a[136:137], v[128:129], 0// 000000009ED4: D3D700F0 0A030188
	buffer_load_dwordx4 a[8:11], v44, s[12:15], 0 offen        // 000000009EDC: E05C1000 8083082C
	v_mfma_i32_16x16x32_i8 v[240:243], a[138:139], v[130:131], v[240:243]// 000000009EE4: D3D700F0 0FC3058A
	v_mfma_i32_16x16x32_i8 v[244:247], a[136:137], v[160:161], 0// 000000009EEC: D3D700F4 0A034188
	v_mfma_i32_16x16x32_i8 v[244:247], a[138:139], v[162:163], v[244:247]// 000000009EF4: D3D700F4 0FD3458A
	v_mfma_i32_16x16x32_i8 v[248:251], a[140:141], v[128:129], 0// 000000009EFC: D3D700F8 0A03018C
	buffer_load_dwordx4 a[12:15], v45, s[12:15], 0 offen       // 000000009F04: E05C1000 80830C2D
	s_add_u32 s12, s78, s12                                    // 000000009F0C: 800C0C4E
	s_addc_u32 s13, 0, s13                                     // 000000009F10: 820D0D80
	v_mfma_i32_16x16x32_i8 v[248:251], a[142:143], v[130:131], v[248:251]// 000000009F14: D3D700F8 0FE3058E
	v_mfma_i32_16x16x32_i8 v[252:255], a[140:141], v[160:161], 0// 000000009F1C: D3D700FC 0A03418C
	v_mfma_i32_16x16x32_i8 v[252:255], a[142:143], v[162:163], v[252:255]// 000000009F24: D3D700FC 0FF3458E
	s_waitcnt vmcnt(45)                                        // 000000009F2C: BF8C8F7D
	v_mfma_i32_16x16x32_i8 v[224:227], a[144:145], v[132:133], v[224:227]// 000000009F30: D3D700E0 0F830990
	buffer_load_dwordx4 a[16:19], v42, s[12:15], 0 offen       // 000000009F38: E05C1000 8083102A
	v_mfma_i32_16x16x32_i8 v[224:227], a[146:147], v[134:135], v[224:227]// 000000009F40: D3D700E0 0F830D92
	v_mfma_i32_16x16x32_i8 v[228:231], a[144:145], v[164:165], v[228:231]// 000000009F48: D3D700E4 0F934990
	v_mfma_i32_16x16x32_i8 v[228:231], a[146:147], v[166:167], v[228:231]// 000000009F50: D3D700E4 0F934D92
	v_mfma_i32_16x16x32_i8 v[232:235], a[148:149], v[132:133], v[232:235]// 000000009F58: D3D700E8 0FA30994
	buffer_load_dwordx4 a[20:23], v43, s[12:15], 0 offen       // 000000009F60: E05C1000 8083142B
	v_mfma_i32_16x16x32_i8 v[232:235], a[150:151], v[134:135], v[232:235]// 000000009F68: D3D700E8 0FA30D96
	v_mfma_i32_16x16x32_i8 v[236:239], a[148:149], v[164:165], v[236:239]// 000000009F70: D3D700EC 0FB34994
	v_mfma_i32_16x16x32_i8 v[236:239], a[150:151], v[166:167], v[236:239]// 000000009F78: D3D700EC 0FB34D96
	v_mfma_i32_16x16x32_i8 v[240:243], a[152:153], v[132:133], v[240:243]// 000000009F80: D3D700F0 0FC30998
	buffer_load_dwordx4 a[24:27], v44, s[12:15], 0 offen       // 000000009F88: E05C1000 8083182C
	v_mfma_i32_16x16x32_i8 v[240:243], a[154:155], v[134:135], v[240:243]// 000000009F90: D3D700F0 0FC30D9A
	v_mfma_i32_16x16x32_i8 v[244:247], a[152:153], v[164:165], v[244:247]// 000000009F98: D3D700F4 0FD34998
	v_mfma_i32_16x16x32_i8 v[244:247], a[154:155], v[166:167], v[244:247]// 000000009FA0: D3D700F4 0FD34D9A
	v_mfma_i32_16x16x32_i8 v[248:251], a[156:157], v[132:133], v[248:251]// 000000009FA8: D3D700F8 0FE3099C
	buffer_load_dwordx4 a[28:31], v45, s[12:15], 0 offen       // 000000009FB0: E05C1000 80831C2D
	s_add_u32 s12, s78, s12                                    // 000000009FB8: 800C0C4E
	s_addc_u32 s13, 0, s13                                     // 000000009FBC: 820D0D80
	v_mfma_i32_16x16x32_i8 v[248:251], a[158:159], v[134:135], v[248:251]// 000000009FC0: D3D700F8 0FE30D9E
	v_mfma_i32_16x16x32_i8 v[252:255], a[156:157], v[164:165], v[252:255]// 000000009FC8: D3D700FC 0FF3499C
	v_mfma_i32_16x16x32_i8 v[252:255], a[158:159], v[166:167], v[252:255]// 000000009FD0: D3D700FC 0FF34D9E
	s_waitcnt vmcnt(45)                                        // 000000009FD8: BF8C8F7D
	v_mfma_i32_16x16x32_i8 v[224:227], a[160:161], v[136:137], v[224:227]// 000000009FDC: D3D700E0 0F8311A0
	buffer_load_dwordx4 a[32:35], v42, s[12:15], 0 offen       // 000000009FE4: E05C1000 8083202A
	v_mfma_i32_16x16x32_i8 v[224:227], a[162:163], v[138:139], v[224:227]// 000000009FEC: D3D700E0 0F8315A2
	v_mfma_i32_16x16x32_i8 v[228:231], a[160:161], v[168:169], v[228:231]// 000000009FF4: D3D700E4 0F9351A0
	v_mfma_i32_16x16x32_i8 v[228:231], a[162:163], v[170:171], v[228:231]// 000000009FFC: D3D700E4 0F9355A2
	v_mfma_i32_16x16x32_i8 v[232:235], a[164:165], v[136:137], v[232:235]// 00000000A004: D3D700E8 0FA311A4
	buffer_load_dwordx4 a[36:39], v43, s[12:15], 0 offen       // 00000000A00C: E05C1000 8083242B
	v_mfma_i32_16x16x32_i8 v[232:235], a[166:167], v[138:139], v[232:235]// 00000000A014: D3D700E8 0FA315A6
	v_mfma_i32_16x16x32_i8 v[236:239], a[164:165], v[168:169], v[236:239]// 00000000A01C: D3D700EC 0FB351A4
	v_mfma_i32_16x16x32_i8 v[236:239], a[166:167], v[170:171], v[236:239]// 00000000A024: D3D700EC 0FB355A6
	v_mfma_i32_16x16x32_i8 v[240:243], a[168:169], v[136:137], v[240:243]// 00000000A02C: D3D700F0 0FC311A8
	buffer_load_dwordx4 a[40:43], v44, s[12:15], 0 offen       // 00000000A034: E05C1000 8083282C
	v_mfma_i32_16x16x32_i8 v[240:243], a[170:171], v[138:139], v[240:243]// 00000000A03C: D3D700F0 0FC315AA
	v_mfma_i32_16x16x32_i8 v[244:247], a[168:169], v[168:169], v[244:247]// 00000000A044: D3D700F4 0FD351A8
	v_mfma_i32_16x16x32_i8 v[244:247], a[170:171], v[170:171], v[244:247]// 00000000A04C: D3D700F4 0FD355AA
	v_mfma_i32_16x16x32_i8 v[248:251], a[172:173], v[136:137], v[248:251]// 00000000A054: D3D700F8 0FE311AC
	buffer_load_dwordx4 a[44:47], v45, s[12:15], 0 offen       // 00000000A05C: E05C1000 80832C2D
	s_add_u32 s12, s78, s12                                    // 00000000A064: 800C0C4E
	s_addc_u32 s13, 0, s13                                     // 00000000A068: 820D0D80
	v_mfma_i32_16x16x32_i8 v[248:251], a[174:175], v[138:139], v[248:251]// 00000000A06C: D3D700F8 0FE315AE
	v_mfma_i32_16x16x32_i8 v[252:255], a[172:173], v[168:169], v[252:255]// 00000000A074: D3D700FC 0FF351AC
	v_mfma_i32_16x16x32_i8 v[252:255], a[174:175], v[170:171], v[252:255]// 00000000A07C: D3D700FC 0FF355AE
	s_waitcnt vmcnt(45)                                        // 00000000A084: BF8C8F7D
	v_mfma_i32_16x16x32_i8 v[224:227], a[176:177], v[140:141], v[224:227]// 00000000A088: D3D700E0 0F8319B0
	buffer_load_dwordx4 a[48:51], v42, s[12:15], 0 offen       // 00000000A090: E05C1000 8083302A
	v_mfma_i32_16x16x32_i8 v[224:227], a[178:179], v[142:143], v[224:227]// 00000000A098: D3D700E0 0F831DB2
	v_mfma_i32_16x16x32_i8 v[228:231], a[176:177], v[172:173], v[228:231]// 00000000A0A0: D3D700E4 0F9359B0
	v_mfma_i32_16x16x32_i8 v[228:231], a[178:179], v[174:175], v[228:231]// 00000000A0A8: D3D700E4 0F935DB2
	v_mfma_i32_16x16x32_i8 v[232:235], a[180:181], v[140:141], v[232:235]// 00000000A0B0: D3D700E8 0FA319B4
	buffer_load_dwordx4 a[52:55], v43, s[12:15], 0 offen       // 00000000A0B8: E05C1000 8083342B
	v_mfma_i32_16x16x32_i8 v[232:235], a[182:183], v[142:143], v[232:235]// 00000000A0C0: D3D700E8 0FA31DB6
	v_mfma_i32_16x16x32_i8 v[236:239], a[180:181], v[172:173], v[236:239]// 00000000A0C8: D3D700EC 0FB359B4
	v_mfma_i32_16x16x32_i8 v[236:239], a[182:183], v[174:175], v[236:239]// 00000000A0D0: D3D700EC 0FB35DB6
	v_mfma_i32_16x16x32_i8 v[240:243], a[184:185], v[140:141], v[240:243]// 00000000A0D8: D3D700F0 0FC319B8
	buffer_load_dwordx4 a[56:59], v44, s[12:15], 0 offen       // 00000000A0E0: E05C1000 8083382C
	v_mfma_i32_16x16x32_i8 v[240:243], a[186:187], v[142:143], v[240:243]// 00000000A0E8: D3D700F0 0FC31DBA
	v_mfma_i32_16x16x32_i8 v[244:247], a[184:185], v[172:173], v[244:247]// 00000000A0F0: D3D700F4 0FD359B8
	v_mfma_i32_16x16x32_i8 v[244:247], a[186:187], v[174:175], v[244:247]// 00000000A0F8: D3D700F4 0FD35DBA
	v_mfma_i32_16x16x32_i8 v[248:251], a[188:189], v[140:141], v[248:251]// 00000000A100: D3D700F8 0FE319BC
	buffer_load_dwordx4 a[60:63], v45, s[12:15], 0 offen       // 00000000A108: E05C1000 80833C2D
	s_add_u32 s12, s78, s12                                    // 00000000A110: 800C0C4E
	s_addc_u32 s13, 0, s13                                     // 00000000A114: 820D0D80
	v_mfma_i32_16x16x32_i8 v[248:251], a[190:191], v[142:143], v[248:251]// 00000000A118: D3D700F8 0FE31DBE
	v_mfma_i32_16x16x32_i8 v[252:255], a[188:189], v[172:173], v[252:255]// 00000000A120: D3D700FC 0FF359BC
	v_mfma_i32_16x16x32_i8 v[252:255], a[190:191], v[174:175], v[252:255]// 00000000A128: D3D700FC 0FF35DBE
	s_waitcnt vmcnt(45)                                        // 00000000A130: BF8C8F7D
	v_mfma_i32_16x16x32_i8 v[224:227], a[192:193], v[144:145], v[224:227]// 00000000A134: D3D700E0 0F8321C0
	buffer_load_dwordx4 a[64:67], v42, s[12:15], 0 offen       // 00000000A13C: E05C1000 8083402A
	v_mfma_i32_16x16x32_i8 v[224:227], a[194:195], v[146:147], v[224:227]// 00000000A144: D3D700E0 0F8325C2
	v_mfma_i32_16x16x32_i8 v[228:231], a[192:193], v[176:177], v[228:231]// 00000000A14C: D3D700E4 0F9361C0
	v_mfma_i32_16x16x32_i8 v[228:231], a[194:195], v[178:179], v[228:231]// 00000000A154: D3D700E4 0F9365C2
	v_mfma_i32_16x16x32_i8 v[232:235], a[196:197], v[144:145], v[232:235]// 00000000A15C: D3D700E8 0FA321C4
	buffer_load_dwordx4 a[68:71], v43, s[12:15], 0 offen       // 00000000A164: E05C1000 8083442B
	v_mfma_i32_16x16x32_i8 v[232:235], a[198:199], v[146:147], v[232:235]// 00000000A16C: D3D700E8 0FA325C6
	v_mfma_i32_16x16x32_i8 v[236:239], a[196:197], v[176:177], v[236:239]// 00000000A174: D3D700EC 0FB361C4
	v_mfma_i32_16x16x32_i8 v[236:239], a[198:199], v[178:179], v[236:239]// 00000000A17C: D3D700EC 0FB365C6
	v_mfma_i32_16x16x32_i8 v[240:243], a[200:201], v[144:145], v[240:243]// 00000000A184: D3D700F0 0FC321C8
	buffer_load_dwordx4 a[72:75], v44, s[12:15], 0 offen       // 00000000A18C: E05C1000 8083482C
	v_mfma_i32_16x16x32_i8 v[240:243], a[202:203], v[146:147], v[240:243]// 00000000A194: D3D700F0 0FC325CA
	v_mfma_i32_16x16x32_i8 v[244:247], a[200:201], v[176:177], v[244:247]// 00000000A19C: D3D700F4 0FD361C8
	v_mfma_i32_16x16x32_i8 v[244:247], a[202:203], v[178:179], v[244:247]// 00000000A1A4: D3D700F4 0FD365CA
	v_mfma_i32_16x16x32_i8 v[248:251], a[204:205], v[144:145], v[248:251]// 00000000A1AC: D3D700F8 0FE321CC
	buffer_load_dwordx4 a[76:79], v45, s[12:15], 0 offen       // 00000000A1B4: E05C1000 80834C2D
	s_add_u32 s12, s78, s12                                    // 00000000A1BC: 800C0C4E
	s_addc_u32 s13, 0, s13                                     // 00000000A1C0: 820D0D80
	v_mfma_i32_16x16x32_i8 v[248:251], a[206:207], v[146:147], v[248:251]// 00000000A1C4: D3D700F8 0FE325CE
	v_mfma_i32_16x16x32_i8 v[252:255], a[204:205], v[176:177], v[252:255]// 00000000A1CC: D3D700FC 0FF361CC
	v_mfma_i32_16x16x32_i8 v[252:255], a[206:207], v[178:179], v[252:255]// 00000000A1D4: D3D700FC 0FF365CE
	s_waitcnt vmcnt(45)                                        // 00000000A1DC: BF8C8F7D
	v_mfma_i32_16x16x32_i8 v[224:227], a[208:209], v[148:149], v[224:227]// 00000000A1E0: D3D700E0 0F8329D0
	buffer_load_dwordx4 a[80:83], v42, s[12:15], 0 offen       // 00000000A1E8: E05C1000 8083502A
	v_mfma_i32_16x16x32_i8 v[224:227], a[210:211], v[150:151], v[224:227]// 00000000A1F0: D3D700E0 0F832DD2
	v_mfma_i32_16x16x32_i8 v[228:231], a[208:209], v[180:181], v[228:231]// 00000000A1F8: D3D700E4 0F9369D0
	v_mfma_i32_16x16x32_i8 v[228:231], a[210:211], v[182:183], v[228:231]// 00000000A200: D3D700E4 0F936DD2
	v_mfma_i32_16x16x32_i8 v[232:235], a[212:213], v[148:149], v[232:235]// 00000000A208: D3D700E8 0FA329D4
	buffer_load_dwordx4 a[84:87], v43, s[12:15], 0 offen       // 00000000A210: E05C1000 8083542B
	v_mfma_i32_16x16x32_i8 v[232:235], a[214:215], v[150:151], v[232:235]// 00000000A218: D3D700E8 0FA32DD6
	v_mfma_i32_16x16x32_i8 v[236:239], a[212:213], v[180:181], v[236:239]// 00000000A220: D3D700EC 0FB369D4
	v_mfma_i32_16x16x32_i8 v[236:239], a[214:215], v[182:183], v[236:239]// 00000000A228: D3D700EC 0FB36DD6
	v_mfma_i32_16x16x32_i8 v[240:243], a[216:217], v[148:149], v[240:243]// 00000000A230: D3D700F0 0FC329D8
	buffer_load_dwordx4 a[88:91], v44, s[12:15], 0 offen       // 00000000A238: E05C1000 8083582C
	v_mfma_i32_16x16x32_i8 v[240:243], a[218:219], v[150:151], v[240:243]// 00000000A240: D3D700F0 0FC32DDA
	v_mfma_i32_16x16x32_i8 v[244:247], a[216:217], v[180:181], v[244:247]// 00000000A248: D3D700F4 0FD369D8
	v_mfma_i32_16x16x32_i8 v[244:247], a[218:219], v[182:183], v[244:247]// 00000000A250: D3D700F4 0FD36DDA
	v_mfma_i32_16x16x32_i8 v[248:251], a[220:221], v[148:149], v[248:251]// 00000000A258: D3D700F8 0FE329DC
	buffer_load_dwordx4 a[92:95], v45, s[12:15], 0 offen       // 00000000A260: E05C1000 80835C2D
	s_add_u32 s12, s78, s12                                    // 00000000A268: 800C0C4E
	s_addc_u32 s13, 0, s13                                     // 00000000A26C: 820D0D80
	v_mfma_i32_16x16x32_i8 v[248:251], a[222:223], v[150:151], v[248:251]// 00000000A270: D3D700F8 0FE32DDE
	v_mfma_i32_16x16x32_i8 v[252:255], a[220:221], v[180:181], v[252:255]// 00000000A278: D3D700FC 0FF369DC
	v_mfma_i32_16x16x32_i8 v[252:255], a[222:223], v[182:183], v[252:255]// 00000000A280: D3D700FC 0FF36DDE
	s_waitcnt vmcnt(45)                                        // 00000000A288: BF8C8F7D
	v_mfma_i32_16x16x32_i8 v[224:227], a[224:225], v[152:153], v[224:227]// 00000000A28C: D3D700E0 0F8331E0
	buffer_load_dwordx4 a[96:99], v42, s[12:15], 0 offen       // 00000000A294: E05C1000 8083602A
	v_mfma_i32_16x16x32_i8 v[224:227], a[226:227], v[154:155], v[224:227]// 00000000A29C: D3D700E0 0F8335E2
	v_mfma_i32_16x16x32_i8 v[228:231], a[224:225], v[184:185], v[228:231]// 00000000A2A4: D3D700E4 0F9371E0
	v_mfma_i32_16x16x32_i8 v[228:231], a[226:227], v[186:187], v[228:231]// 00000000A2AC: D3D700E4 0F9375E2
	v_mfma_i32_16x16x32_i8 v[232:235], a[228:229], v[152:153], v[232:235]// 00000000A2B4: D3D700E8 0FA331E4
	buffer_load_dwordx4 a[100:103], v43, s[12:15], 0 offen     // 00000000A2BC: E05C1000 8083642B
	v_mfma_i32_16x16x32_i8 v[232:235], a[230:231], v[154:155], v[232:235]// 00000000A2C4: D3D700E8 0FA335E6
	v_mfma_i32_16x16x32_i8 v[236:239], a[228:229], v[184:185], v[236:239]// 00000000A2CC: D3D700EC 0FB371E4
	v_mfma_i32_16x16x32_i8 v[236:239], a[230:231], v[186:187], v[236:239]// 00000000A2D4: D3D700EC 0FB375E6
	v_mfma_i32_16x16x32_i8 v[240:243], a[232:233], v[152:153], v[240:243]// 00000000A2DC: D3D700F0 0FC331E8
	buffer_load_dwordx4 a[104:107], v44, s[12:15], 0 offen     // 00000000A2E4: E05C1000 8083682C
	v_mfma_i32_16x16x32_i8 v[240:243], a[234:235], v[154:155], v[240:243]// 00000000A2EC: D3D700F0 0FC335EA
	v_mfma_i32_16x16x32_i8 v[244:247], a[232:233], v[184:185], v[244:247]// 00000000A2F4: D3D700F4 0FD371E8
	v_mfma_i32_16x16x32_i8 v[244:247], a[234:235], v[186:187], v[244:247]// 00000000A2FC: D3D700F4 0FD375EA
	v_mfma_i32_16x16x32_i8 v[248:251], a[236:237], v[152:153], v[248:251]// 00000000A304: D3D700F8 0FE331EC
	buffer_load_dwordx4 a[108:111], v45, s[12:15], 0 offen     // 00000000A30C: E05C1000 80836C2D
	s_add_u32 s12, s78, s12                                    // 00000000A314: 800C0C4E
	s_addc_u32 s13, 0, s13                                     // 00000000A318: 820D0D80
	v_mfma_i32_16x16x32_i8 v[248:251], a[238:239], v[154:155], v[248:251]// 00000000A31C: D3D700F8 0FE335EE
	v_mfma_i32_16x16x32_i8 v[252:255], a[236:237], v[184:185], v[252:255]// 00000000A324: D3D700FC 0FF371EC
	v_mfma_i32_16x16x32_i8 v[252:255], a[238:239], v[186:187], v[252:255]// 00000000A32C: D3D700FC 0FF375EE
	s_waitcnt vmcnt(44)                                        // 00000000A334: BF8C8F7C
	v_mfma_i32_16x16x32_i8 v[224:227], a[240:241], v[156:157], v[224:227]// 00000000A338: D3D700E0 0F8339F0
	buffer_load_dwordx4 a[112:115], v42, s[12:15], 0 offen     // 00000000A340: E05C1000 8083702A
	v_mfma_i32_16x16x32_i8 v[224:227], a[242:243], v[158:159], v[224:227]// 00000000A348: D3D700E0 0F833DF2
	v_mfma_i32_16x16x32_i8 v[228:231], a[240:241], v[188:189], v[228:231]// 00000000A350: D3D700E4 0F9379F0
	buffer_load_dword v12, v5, s[16:19], 0 offen               // 00000000A358: E0501000 80040C05
	v_mfma_i32_16x16x32_i8 v[228:231], a[242:243], v[190:191], v[228:231]// 00000000A360: D3D700E4 0F937DF2
	v_mfma_i32_16x16x32_i8 v[232:235], a[244:245], v[156:157], v[232:235]// 00000000A368: D3D700E8 0FA339F4
	buffer_load_dwordx4 a[116:119], v43, s[12:15], 0 offen     // 00000000A370: E05C1000 8083742B
	v_mfma_i32_16x16x32_i8 v[232:235], a[246:247], v[158:159], v[232:235]// 00000000A378: D3D700E8 0FA33DF6
	v_mfma_i32_16x16x32_i8 v[236:239], a[244:245], v[188:189], v[236:239]// 00000000A380: D3D700EC 0FB379F4
	v_mfma_i32_16x16x32_i8 v[236:239], a[246:247], v[190:191], v[236:239]// 00000000A388: D3D700EC 0FB37DF6
	v_mfma_i32_16x16x32_i8 v[240:243], a[248:249], v[156:157], v[240:243]// 00000000A390: D3D700F0 0FC339F8
	buffer_load_dwordx4 a[120:123], v44, s[12:15], 0 offen     // 00000000A398: E05C1000 8083782C
	v_mfma_i32_16x16x32_i8 v[240:243], a[250:251], v[158:159], v[240:243]// 00000000A3A0: D3D700F0 0FC33DFA
	v_mfma_i32_16x16x32_i8 v[244:247], a[248:249], v[188:189], v[244:247]// 00000000A3A8: D3D700F4 0FD379F8
	v_mfma_i32_16x16x32_i8 v[244:247], a[250:251], v[190:191], v[244:247]// 00000000A3B0: D3D700F4 0FD37DFA
	v_mfma_i32_16x16x32_i8 v[248:251], a[252:253], v[156:157], v[248:251]// 00000000A3B8: D3D700F8 0FE339FC
	buffer_load_dwordx4 a[124:127], v45, s[12:15], 0 offen     // 00000000A3C0: E05C1000 80837C2D
	v_mfma_i32_16x16x32_i8 v[248:251], a[254:255], v[158:159], v[248:251]// 00000000A3C8: D3D700F8 0FE33DFE
	v_mfma_i32_16x16x32_i8 v[252:255], a[252:253], v[188:189], v[252:255]// 00000000A3D0: D3D700FC 0FF379FC
	v_mfma_i32_16x16x32_i8 v[252:255], a[254:255], v[190:191], v[252:255]// 00000000A3D8: D3D700FC 0FF37DFE
	s_add_u32 s60, 0x200, s80                                  // 00000000A3E0: 803C50FF 00000200
	s_cmp_lt_u32 s60, s81                                      // 00000000A3E8: BF0A513C
	s_cselect_b32 s56, s56, 0                                  // 00000000A3EC: 85388038
	s_cselect_b32 s78, s78, 0                                  // 00000000A3F0: 854E804E
	s_cselect_b32 s79, s79, 0                                  // 00000000A3F4: 854F804F
	s_add_u32 s12, s56, s12                                    // 00000000A3F8: 800C0C38
	s_addc_u32 s13, 0, s13                                     // 00000000A3FC: 820D0D80
	s_add_u32 s16, s79, s16                                    // 00000000A400: 8010104F
	s_addc_u32 s17, 0, s17                                     // 00000000A404: 82111180
	v_cvt_f32_i32_e32 v224, v224                               // 00000000A408: 7FC00BE0
	v_cvt_f32_i32_e32 v225, v225                               // 00000000A40C: 7FC20BE1
	v_cvt_f32_i32_e32 v226, v226                               // 00000000A410: 7FC40BE2
	v_cvt_f32_i32_e32 v227, v227                               // 00000000A414: 7FC60BE3
	v_mul_f32_e32 v224, v24, v224                              // 00000000A418: 0BC1C118
	v_mul_f32_e32 v225, v24, v225                              // 00000000A41C: 0BC3C318
	v_mul_f32_e32 v226, v24, v226                              // 00000000A420: 0BC5C518
	v_mul_f32_e32 v227, v24, v227                              // 00000000A424: 0BC7C718
	v_mul_f32_dpp v224, v13, v224 row_newbcast:0 row_mask:0xf bank_mask:0xf// 00000000A428: 0BC1C0FA FF01500D
	v_mul_f32_dpp v225, v13, v225 row_newbcast:1 row_mask:0xf bank_mask:0xf// 00000000A430: 0BC3C2FA FF01510D
	v_mul_f32_dpp v226, v13, v226 row_newbcast:2 row_mask:0xf bank_mask:0xf// 00000000A438: 0BC5C4FA FF01520D
	v_mul_f32_dpp v227, v13, v227 row_newbcast:3 row_mask:0xf bank_mask:0xf// 00000000A440: 0BC7C6FA FF01530D
	v_mul_f32_e32 v224, v20, v224                              // 00000000A448: 0BC1C114
	v_mul_f32_e32 v225, v20, v225                              // 00000000A44C: 0BC3C314
	v_mul_f32_e32 v226, v20, v226                              // 00000000A450: 0BC5C514
	v_mul_f32_e32 v227, v20, v227                              // 00000000A454: 0BC7C714
	v_cvt_f32_i32_e32 v228, v228                               // 00000000A458: 7FC80BE4
	v_cvt_f32_i32_e32 v229, v229                               // 00000000A45C: 7FCA0BE5
	v_cvt_f32_i32_e32 v230, v230                               // 00000000A460: 7FCC0BE6
	v_cvt_f32_i32_e32 v231, v231                               // 00000000A464: 7FCE0BE7
	v_mul_f32_e32 v228, v25, v228                              // 00000000A468: 0BC9C919
	v_mul_f32_e32 v229, v25, v229                              // 00000000A46C: 0BCBCB19
	v_mul_f32_e32 v230, v25, v230                              // 00000000A470: 0BCDCD19
	v_mul_f32_e32 v231, v25, v231                              // 00000000A474: 0BCFCF19
	v_mul_f32_dpp v228, v13, v228 row_newbcast:0 row_mask:0xf bank_mask:0xf// 00000000A478: 0BC9C8FA FF01500D
	v_mul_f32_dpp v229, v13, v229 row_newbcast:1 row_mask:0xf bank_mask:0xf// 00000000A480: 0BCBCAFA FF01510D
	v_mul_f32_dpp v230, v13, v230 row_newbcast:2 row_mask:0xf bank_mask:0xf// 00000000A488: 0BCDCCFA FF01520D
	v_mul_f32_dpp v231, v13, v231 row_newbcast:3 row_mask:0xf bank_mask:0xf// 00000000A490: 0BCFCEFA FF01530D
	v_mul_f32_e32 v228, v21, v228                              // 00000000A498: 0BC9C915
	v_mul_f32_e32 v229, v21, v229                              // 00000000A49C: 0BCBCB15
	v_mul_f32_e32 v230, v21, v230                              // 00000000A4A0: 0BCDCD15
	v_mul_f32_e32 v231, v21, v231                              // 00000000A4A4: 0BCFCF15
	v_cvt_f32_i32_e32 v232, v232                               // 00000000A4A8: 7FD00BE8
	v_cvt_f32_i32_e32 v233, v233                               // 00000000A4AC: 7FD20BE9
	v_cvt_f32_i32_e32 v234, v234                               // 00000000A4B0: 7FD40BEA
	v_cvt_f32_i32_e32 v235, v235                               // 00000000A4B4: 7FD60BEB
	v_mul_f32_e32 v232, v24, v232                              // 00000000A4B8: 0BD1D118
	v_mul_f32_e32 v233, v24, v233                              // 00000000A4BC: 0BD3D318
	v_mul_f32_e32 v234, v24, v234                              // 00000000A4C0: 0BD5D518
	v_mul_f32_e32 v235, v24, v235                              // 00000000A4C4: 0BD7D718
	v_mul_f32_dpp v232, v13, v232 row_newbcast:4 row_mask:0xf bank_mask:0xf// 00000000A4C8: 0BD1D0FA FF01540D
	v_mul_f32_dpp v233, v13, v233 row_newbcast:5 row_mask:0xf bank_mask:0xf// 00000000A4D0: 0BD3D2FA FF01550D
	v_mul_f32_dpp v234, v13, v234 row_newbcast:6 row_mask:0xf bank_mask:0xf// 00000000A4D8: 0BD5D4FA FF01560D
	v_mul_f32_dpp v235, v13, v235 row_newbcast:7 row_mask:0xf bank_mask:0xf// 00000000A4E0: 0BD7D6FA FF01570D
	v_mul_f32_e32 v232, v20, v232                              // 00000000A4E8: 0BD1D114
	v_mul_f32_e32 v233, v20, v233                              // 00000000A4EC: 0BD3D314
	v_mul_f32_e32 v234, v20, v234                              // 00000000A4F0: 0BD5D514
	v_mul_f32_e32 v235, v20, v235                              // 00000000A4F4: 0BD7D714
	v_cvt_f32_i32_e32 v236, v236                               // 00000000A4F8: 7FD80BEC
	v_cvt_f32_i32_e32 v237, v237                               // 00000000A4FC: 7FDA0BED
	v_cvt_f32_i32_e32 v238, v238                               // 00000000A500: 7FDC0BEE
	v_cvt_f32_i32_e32 v239, v239                               // 00000000A504: 7FDE0BEF
	v_mul_f32_e32 v236, v25, v236                              // 00000000A508: 0BD9D919
	v_mul_f32_e32 v237, v25, v237                              // 00000000A50C: 0BDBDB19
	v_mul_f32_e32 v238, v25, v238                              // 00000000A510: 0BDDDD19
	v_mul_f32_e32 v239, v25, v239                              // 00000000A514: 0BDFDF19
	v_mul_f32_dpp v236, v13, v236 row_newbcast:4 row_mask:0xf bank_mask:0xf// 00000000A518: 0BD9D8FA FF01540D
	v_mul_f32_dpp v237, v13, v237 row_newbcast:5 row_mask:0xf bank_mask:0xf// 00000000A520: 0BDBDAFA FF01550D
	v_mul_f32_dpp v238, v13, v238 row_newbcast:6 row_mask:0xf bank_mask:0xf// 00000000A528: 0BDDDCFA FF01560D
	v_mul_f32_dpp v239, v13, v239 row_newbcast:7 row_mask:0xf bank_mask:0xf// 00000000A530: 0BDFDEFA FF01570D
	v_mul_f32_e32 v236, v21, v236                              // 00000000A538: 0BD9D915
	v_mul_f32_e32 v237, v21, v237                              // 00000000A53C: 0BDBDB15
	v_mul_f32_e32 v238, v21, v238                              // 00000000A540: 0BDDDD15
	v_mul_f32_e32 v239, v21, v239                              // 00000000A544: 0BDFDF15
	v_cvt_f32_i32_e32 v240, v240                               // 00000000A548: 7FE00BF0
	v_cvt_f32_i32_e32 v241, v241                               // 00000000A54C: 7FE20BF1
	v_cvt_f32_i32_e32 v242, v242                               // 00000000A550: 7FE40BF2
	v_cvt_f32_i32_e32 v243, v243                               // 00000000A554: 7FE60BF3
	v_mul_f32_e32 v240, v24, v240                              // 00000000A558: 0BE1E118
	v_mul_f32_e32 v241, v24, v241                              // 00000000A55C: 0BE3E318
	v_mul_f32_e32 v242, v24, v242                              // 00000000A560: 0BE5E518
	v_mul_f32_e32 v243, v24, v243                              // 00000000A564: 0BE7E718
	v_mul_f32_dpp v240, v13, v240 row_newbcast:8 row_mask:0xf bank_mask:0xf// 00000000A568: 0BE1E0FA FF01580D
	v_mul_f32_dpp v241, v13, v241 row_newbcast:9 row_mask:0xf bank_mask:0xf// 00000000A570: 0BE3E2FA FF01590D
	v_mul_f32_dpp v242, v13, v242 row_newbcast:10 row_mask:0xf bank_mask:0xf// 00000000A578: 0BE5E4FA FF015A0D
	v_mul_f32_dpp v243, v13, v243 row_newbcast:11 row_mask:0xf bank_mask:0xf// 00000000A580: 0BE7E6FA FF015B0D
	v_mul_f32_e32 v240, v20, v240                              // 00000000A588: 0BE1E114
	v_mul_f32_e32 v241, v20, v241                              // 00000000A58C: 0BE3E314
	v_mul_f32_e32 v242, v20, v242                              // 00000000A590: 0BE5E514
	v_mul_f32_e32 v243, v20, v243                              // 00000000A594: 0BE7E714
	v_cvt_f32_i32_e32 v244, v244                               // 00000000A598: 7FE80BF4
	v_cvt_f32_i32_e32 v245, v245                               // 00000000A59C: 7FEA0BF5
	v_cvt_f32_i32_e32 v246, v246                               // 00000000A5A0: 7FEC0BF6
	v_cvt_f32_i32_e32 v247, v247                               // 00000000A5A4: 7FEE0BF7
	v_mul_f32_e32 v244, v25, v244                              // 00000000A5A8: 0BE9E919
	v_mul_f32_e32 v245, v25, v245                              // 00000000A5AC: 0BEBEB19
	v_mul_f32_e32 v246, v25, v246                              // 00000000A5B0: 0BEDED19
	v_mul_f32_e32 v247, v25, v247                              // 00000000A5B4: 0BEFEF19
	v_mul_f32_dpp v244, v13, v244 row_newbcast:8 row_mask:0xf bank_mask:0xf// 00000000A5B8: 0BE9E8FA FF01580D
	v_mul_f32_dpp v245, v13, v245 row_newbcast:9 row_mask:0xf bank_mask:0xf// 00000000A5C0: 0BEBEAFA FF01590D
	v_mul_f32_dpp v246, v13, v246 row_newbcast:10 row_mask:0xf bank_mask:0xf// 00000000A5C8: 0BEDECFA FF015A0D
	v_mul_f32_dpp v247, v13, v247 row_newbcast:11 row_mask:0xf bank_mask:0xf// 00000000A5D0: 0BEFEEFA FF015B0D
	v_mul_f32_e32 v244, v21, v244                              // 00000000A5D8: 0BE9E915
	v_mul_f32_e32 v245, v21, v245                              // 00000000A5DC: 0BEBEB15
	v_mul_f32_e32 v246, v21, v246                              // 00000000A5E0: 0BEDED15
	v_mul_f32_e32 v247, v21, v247                              // 00000000A5E4: 0BEFEF15
	v_cvt_f32_i32_e32 v248, v248                               // 00000000A5E8: 7FF00BF8
	v_cvt_f32_i32_e32 v249, v249                               // 00000000A5EC: 7FF20BF9
	v_cvt_f32_i32_e32 v250, v250                               // 00000000A5F0: 7FF40BFA
	v_cvt_f32_i32_e32 v251, v251                               // 00000000A5F4: 7FF60BFB
	v_mul_f32_e32 v248, v24, v248                              // 00000000A5F8: 0BF1F118
	v_mul_f32_e32 v249, v24, v249                              // 00000000A5FC: 0BF3F318
	v_mul_f32_e32 v250, v24, v250                              // 00000000A600: 0BF5F518
	v_mul_f32_e32 v251, v24, v251                              // 00000000A604: 0BF7F718
	v_mul_f32_dpp v248, v13, v248 row_newbcast:12 row_mask:0xf bank_mask:0xf// 00000000A608: 0BF1F0FA FF015C0D
	v_mul_f32_dpp v249, v13, v249 row_newbcast:13 row_mask:0xf bank_mask:0xf// 00000000A610: 0BF3F2FA FF015D0D
	v_mul_f32_dpp v250, v13, v250 row_newbcast:14 row_mask:0xf bank_mask:0xf// 00000000A618: 0BF5F4FA FF015E0D
	v_mul_f32_dpp v251, v13, v251 row_newbcast:15 row_mask:0xf bank_mask:0xf// 00000000A620: 0BF7F6FA FF015F0D
	v_mul_f32_e32 v248, v20, v248                              // 00000000A628: 0BF1F114
	v_mul_f32_e32 v249, v20, v249                              // 00000000A62C: 0BF3F314
	v_mul_f32_e32 v250, v20, v250                              // 00000000A630: 0BF5F514
	v_mul_f32_e32 v251, v20, v251                              // 00000000A634: 0BF7F714
	v_cvt_f32_i32_e32 v252, v252                               // 00000000A638: 7FF80BFC
	v_cvt_f32_i32_e32 v253, v253                               // 00000000A63C: 7FFA0BFD
	v_cvt_f32_i32_e32 v254, v254                               // 00000000A640: 7FFC0BFE
	v_cvt_f32_i32_e32 v255, v255                               // 00000000A644: 7FFE0BFF
	v_mul_f32_e32 v252, v25, v252                              // 00000000A648: 0BF9F919
	v_mul_f32_e32 v253, v25, v253                              // 00000000A64C: 0BFBFB19
	v_mul_f32_e32 v254, v25, v254                              // 00000000A650: 0BFDFD19
	v_mul_f32_e32 v255, v25, v255                              // 00000000A654: 0BFFFF19
	v_mul_f32_dpp v252, v13, v252 row_newbcast:12 row_mask:0xf bank_mask:0xf// 00000000A658: 0BF9F8FA FF015C0D
	v_mul_f32_dpp v253, v13, v253 row_newbcast:13 row_mask:0xf bank_mask:0xf// 00000000A660: 0BFBFAFA FF015D0D
	v_mul_f32_dpp v254, v13, v254 row_newbcast:14 row_mask:0xf bank_mask:0xf// 00000000A668: 0BFDFCFA FF015E0D
	v_mul_f32_dpp v255, v13, v255 row_newbcast:15 row_mask:0xf bank_mask:0xf// 00000000A670: 0BFFFEFA FF015F0D
	v_mul_f32_e32 v252, v21, v252                              // 00000000A678: 0BF9F915
	v_mul_f32_e32 v253, v21, v253                              // 00000000A67C: 0BFBFB15
	v_mul_f32_e32 v254, v21, v254                              // 00000000A680: 0BFDFD15
	v_mul_f32_e32 v255, v21, v255                              // 00000000A684: 0BFFFF15
	v_cvt_pkrtz_f16_f32 v224, v224, v225                       // 00000000A688: D29600E0 0003C3E0
	v_cvt_pkrtz_f16_f32 v225, v226, v227                       // 00000000A690: D29600E1 0003C7E2
	v_cvt_pkrtz_f16_f32 v226, v228, v229                       // 00000000A698: D29600E2 0003CBE4
	v_cvt_pkrtz_f16_f32 v227, v230, v231                       // 00000000A6A0: D29600E3 0003CFE6
	v_cvt_pkrtz_f16_f32 v228, v232, v233                       // 00000000A6A8: D29600E4 0003D3E8
	v_cvt_pkrtz_f16_f32 v229, v234, v235                       // 00000000A6B0: D29600E5 0003D7EA
	v_cvt_pkrtz_f16_f32 v230, v236, v237                       // 00000000A6B8: D29600E6 0003DBEC
	v_cvt_pkrtz_f16_f32 v231, v238, v239                       // 00000000A6C0: D29600E7 0003DFEE
	v_cvt_pkrtz_f16_f32 v232, v240, v241                       // 00000000A6C8: D29600E8 0003E3F0
	v_cvt_pkrtz_f16_f32 v233, v242, v243                       // 00000000A6D0: D29600E9 0003E7F2
	v_cvt_pkrtz_f16_f32 v234, v244, v245                       // 00000000A6D8: D29600EA 0003EBF4
	v_cvt_pkrtz_f16_f32 v235, v246, v247                       // 00000000A6E0: D29600EB 0003EFF6
	v_cvt_pkrtz_f16_f32 v236, v248, v249                       // 00000000A6E8: D29600EC 0003F3F8
	v_cvt_pkrtz_f16_f32 v237, v250, v251                       // 00000000A6F0: D29600ED 0003F7FA
	v_cvt_pkrtz_f16_f32 v238, v252, v253                       // 00000000A6F8: D29600EE 0003FBFC
	v_cvt_pkrtz_f16_f32 v239, v254, v255                       // 00000000A700: D29600EF 0003FFFE
	ds_write_b64 v3, v[224:225] offset:35072                   // 00000000A708: D89A8900 0000E003
	ds_write_b64 v3, v[226:227] offset:43776                   // 00000000A710: D89AAB00 0000E203
	ds_write_b64 v3, v[228:229] offset:37248                   // 00000000A718: D89A9180 0000E403
	ds_write_b64 v3, v[230:231] offset:45952                   // 00000000A720: D89AB380 0000E603
	ds_write_b64 v3, v[232:233] offset:39424                   // 00000000A728: D89A9A00 0000E803
	ds_write_b64 v3, v[234:235] offset:48128                   // 00000000A730: D89ABC00 0000EA03
	ds_write_b64 v3, v[236:237] offset:41600                   // 00000000A738: D89AA280 0000EC03
	ds_write_b64 v3, v[238:239] offset:50304                   // 00000000A740: D89AC480 0000EE03
	s_waitcnt lgkmcnt(0)                                       // 00000000A748: BF8CC07F
	s_barrier                                                  // 00000000A74C: BF8A0000
	ds_read_b32 v64, v4 offset:35072                           // 00000000A750: D86C8900 40000004
	ds_read_b32 v65, v4 offset:39424                           // 00000000A758: D86C9A00 41000004
	ds_read_b32 v66, v4 offset:35104                           // 00000000A760: D86C8920 42000004
	ds_read_b32 v67, v4 offset:39456                           // 00000000A768: D86C9A20 43000004
	ds_read_b32 v68, v4 offset:35136                           // 00000000A770: D86C8940 44000004
	ds_read_b32 v69, v4 offset:39488                           // 00000000A778: D86C9A40 45000004
	ds_read_b32 v70, v4 offset:35168                           // 00000000A780: D86C8960 46000004
	ds_read_b32 v71, v4 offset:39520                           // 00000000A788: D86C9A60 47000004
	ds_read_b32 v72, v4 offset:43776                           // 00000000A790: D86CAB00 48000004
	ds_read_b32 v73, v4 offset:48128                           // 00000000A798: D86CBC00 49000004
	ds_read_b32 v74, v4 offset:43808                           // 00000000A7A0: D86CAB20 4A000004
	ds_read_b32 v75, v4 offset:48160                           // 00000000A7A8: D86CBC20 4B000004
	ds_read_b32 v76, v4 offset:43840                           // 00000000A7B0: D86CAB40 4C000004
	ds_read_b32 v77, v4 offset:48192                           // 00000000A7B8: D86CBC40 4D000004
	ds_read_b32 v78, v4 offset:43872                           // 00000000A7C0: D86CAB60 4E000004
	ds_read_b32 v79, v4 offset:48224                           // 00000000A7C8: D86CBC60 4F000004
	s_waitcnt lgkmcnt(0)                                       // 00000000A7D0: BF8CC07F
	s_mov_b64 exec, s[20:21]                                   // 00000000A7D4: BEFE0114
	global_atomic_pk_add_f16 v80, v64, s[8:9]                  // 00000000A7D8: DD388000 00084050
	s_mov_b64 exec, s[36:37]                                   // 00000000A7E0: BEFE0124
	s_mov_b64 exec, s[20:21]                                   // 00000000A7E4: BEFE0114
	global_atomic_pk_add_f16 v80, v65, s[8:9] offset:256       // 00000000A7E8: DD388100 00084150
	s_mov_b64 exec, s[36:37]                                   // 00000000A7F0: BEFE0124
	s_mov_b64 exec, s[22:23]                                   // 00000000A7F4: BEFE0116
	global_atomic_pk_add_f16 v82, v66, s[8:9]                  // 00000000A7F8: DD388000 00084252
	s_mov_b64 exec, s[36:37]                                   // 00000000A800: BEFE0124
	s_mov_b64 exec, s[22:23]                                   // 00000000A804: BEFE0116
	global_atomic_pk_add_f16 v82, v67, s[8:9] offset:256       // 00000000A808: DD388100 00084352
	s_mov_b64 exec, s[36:37]                                   // 00000000A810: BEFE0124
	s_mov_b64 exec, s[24:25]                                   // 00000000A814: BEFE0118
	global_atomic_pk_add_f16 v84, v68, s[8:9]                  // 00000000A818: DD388000 00084454
	s_mov_b64 exec, s[36:37]                                   // 00000000A820: BEFE0124
	s_mov_b64 exec, s[24:25]                                   // 00000000A824: BEFE0118
	global_atomic_pk_add_f16 v84, v69, s[8:9] offset:256       // 00000000A828: DD388100 00084554
	s_mov_b64 exec, s[36:37]                                   // 00000000A830: BEFE0124
	s_mov_b64 exec, s[26:27]                                   // 00000000A834: BEFE011A
	global_atomic_pk_add_f16 v86, v70, s[8:9]                  // 00000000A838: DD388000 00084656
	s_mov_b64 exec, s[36:37]                                   // 00000000A840: BEFE0124
	s_mov_b64 exec, s[26:27]                                   // 00000000A844: BEFE011A
	global_atomic_pk_add_f16 v86, v71, s[8:9] offset:256       // 00000000A848: DD388100 00084756
	s_mov_b64 exec, s[36:37]                                   // 00000000A850: BEFE0124
	s_mov_b64 exec, s[28:29]                                   // 00000000A854: BEFE011C
	global_atomic_pk_add_f16 v88, v72, s[8:9]                  // 00000000A858: DD388000 00084858
	s_mov_b64 exec, s[36:37]                                   // 00000000A860: BEFE0124
	s_mov_b64 exec, s[28:29]                                   // 00000000A864: BEFE011C
	global_atomic_pk_add_f16 v88, v73, s[8:9] offset:256       // 00000000A868: DD388100 00084958
	s_mov_b64 exec, s[36:37]                                   // 00000000A870: BEFE0124
	s_mov_b64 exec, s[30:31]                                   // 00000000A874: BEFE011E
	global_atomic_pk_add_f16 v90, v74, s[8:9]                  // 00000000A878: DD388000 00084A5A
	s_mov_b64 exec, s[36:37]                                   // 00000000A880: BEFE0124
	s_mov_b64 exec, s[30:31]                                   // 00000000A884: BEFE011E
	global_atomic_pk_add_f16 v90, v75, s[8:9] offset:256       // 00000000A888: DD388100 00084B5A
	s_mov_b64 exec, s[36:37]                                   // 00000000A890: BEFE0124
	s_mov_b64 exec, s[32:33]                                   // 00000000A894: BEFE0120
	global_atomic_pk_add_f16 v92, v76, s[8:9]                  // 00000000A898: DD388000 00084C5C
	s_mov_b64 exec, s[36:37]                                   // 00000000A8A0: BEFE0124
	s_mov_b64 exec, s[32:33]                                   // 00000000A8A4: BEFE0120
	global_atomic_pk_add_f16 v92, v77, s[8:9] offset:256       // 00000000A8A8: DD388100 00084D5C
	s_mov_b64 exec, s[36:37]                                   // 00000000A8B0: BEFE0124
	s_mov_b64 exec, s[34:35]                                   // 00000000A8B4: BEFE0122
	global_atomic_pk_add_f16 v94, v78, s[8:9]                  // 00000000A8B8: DD388000 00084E5E
	s_mov_b64 exec, s[36:37]                                   // 00000000A8C0: BEFE0124
	s_mov_b64 exec, s[34:35]                                   // 00000000A8C4: BEFE0122
	global_atomic_pk_add_f16 v94, v79, s[8:9] offset:256       // 00000000A8C8: DD388100 00084F5E
	s_mov_b64 exec, s[36:37]                                   // 00000000A8D0: BEFE0124
	s_add_u32 s8, s59, s8                                      // 00000000A8D4: 8008083B
	s_addc_u32 s9, 0, s9                                       // 00000000A8D8: 82090980
	s_addk_i32 s80, 0x100                                      // 00000000A8DC: B7500100
	s_cmp_lt_i32 s80, s81                                      // 00000000A8E0: BF045150
	s_cbranch_scc0 label_10D7                                  // 00000000A8E4: BF84F21D
	s_branch label_1984                                        // 00000000A8E8: BF82FAC9

000000000000a8ec <label_1EBB>:
	s_waitcnt vmcnt(0) expcnt(0) lgkmcnt(0)                    // 00000000A8EC: BF8C0000
	s_add_u32 s100, s100, 1                                    // 00000000A8F0: 80648164
	s_cmp_eq_u32 s96, 0                                        // 00000000A8F4: BF068060
	s_cbranch_scc0 label_0039                                  // 00000000A8F8: BF84E17A

000000000000a8fc <label_1EBF>:
	s_waitcnt vmcnt(0) expcnt(0) lgkmcnt(0)                    // 00000000A8FC: BF8C0000
	s_endpgm                                                   // 00000000A900: BF810000
